;; amdgpu-corpus repo=ROCm/rocFFT kind=compiled arch=gfx950 opt=O3
	.text
	.amdgcn_target "amdgcn-amd-amdhsa--gfx950"
	.amdhsa_code_object_version 6
	.protected	fft_rtc_back_len2028_factors_13_4_3_13_wgs_156_tpt_156_sp_ip_CI_unitstride_sbrr_R2C_dirReg ; -- Begin function fft_rtc_back_len2028_factors_13_4_3_13_wgs_156_tpt_156_sp_ip_CI_unitstride_sbrr_R2C_dirReg
	.globl	fft_rtc_back_len2028_factors_13_4_3_13_wgs_156_tpt_156_sp_ip_CI_unitstride_sbrr_R2C_dirReg
	.p2align	8
	.type	fft_rtc_back_len2028_factors_13_4_3_13_wgs_156_tpt_156_sp_ip_CI_unitstride_sbrr_R2C_dirReg,@function
fft_rtc_back_len2028_factors_13_4_3_13_wgs_156_tpt_156_sp_ip_CI_unitstride_sbrr_R2C_dirReg: ; @fft_rtc_back_len2028_factors_13_4_3_13_wgs_156_tpt_156_sp_ip_CI_unitstride_sbrr_R2C_dirReg
; %bb.0:
	s_load_dwordx2 s[8:9], s[0:1], 0x50
	s_load_dwordx4 s[4:7], s[0:1], 0x0
	s_load_dwordx2 s[10:11], s[0:1], 0x18
	v_mul_u32_u24_e32 v1, 0x1a5, v0
	v_add_u32_sdwa v6, s2, v1 dst_sel:DWORD dst_unused:UNUSED_PAD src0_sel:DWORD src1_sel:WORD_1
	v_mov_b32_e32 v4, 0
	s_waitcnt lgkmcnt(0)
	v_cmp_lt_u64_e64 s[2:3], s[6:7], 2
	v_mov_b32_e32 v7, v4
	s_and_b64 vcc, exec, s[2:3]
	v_mov_b64_e32 v[2:3], 0
	s_cbranch_vccnz .LBB0_8
; %bb.1:
	s_load_dwordx2 s[2:3], s[0:1], 0x10
	s_add_u32 s12, s10, 8
	s_addc_u32 s13, s11, 0
	s_mov_b64 s[14:15], 1
	v_mov_b64_e32 v[2:3], 0
	s_waitcnt lgkmcnt(0)
	s_add_u32 s16, s2, 8
	s_addc_u32 s17, s3, 0
.LBB0_2:                                ; =>This Inner Loop Header: Depth=1
	s_load_dwordx2 s[18:19], s[16:17], 0x0
                                        ; implicit-def: $vgpr8_vgpr9
	s_waitcnt lgkmcnt(0)
	v_or_b32_e32 v5, s19, v7
	v_cmp_ne_u64_e32 vcc, 0, v[4:5]
	s_and_saveexec_b64 s[2:3], vcc
	s_xor_b64 s[20:21], exec, s[2:3]
	s_cbranch_execz .LBB0_4
; %bb.3:                                ;   in Loop: Header=BB0_2 Depth=1
	v_cvt_f32_u32_e32 v1, s18
	v_cvt_f32_u32_e32 v5, s19
	s_sub_u32 s2, 0, s18
	s_subb_u32 s3, 0, s19
	v_fmac_f32_e32 v1, 0x4f800000, v5
	v_rcp_f32_e32 v1, v1
	s_nop 0
	v_mul_f32_e32 v1, 0x5f7ffffc, v1
	v_mul_f32_e32 v5, 0x2f800000, v1
	v_trunc_f32_e32 v5, v5
	v_fmac_f32_e32 v1, 0xcf800000, v5
	v_cvt_u32_f32_e32 v5, v5
	v_cvt_u32_f32_e32 v1, v1
	v_mul_lo_u32 v8, s2, v5
	v_mul_hi_u32 v10, s2, v1
	v_mul_lo_u32 v9, s3, v1
	v_add_u32_e32 v10, v10, v8
	v_mul_lo_u32 v12, s2, v1
	v_add_u32_e32 v13, v10, v9
	v_mul_hi_u32 v8, v1, v12
	v_mul_hi_u32 v11, v1, v13
	v_mul_lo_u32 v10, v1, v13
	v_mov_b32_e32 v9, v4
	v_lshl_add_u64 v[8:9], v[8:9], 0, v[10:11]
	v_mul_hi_u32 v11, v5, v12
	v_mul_lo_u32 v12, v5, v12
	v_add_co_u32_e32 v8, vcc, v8, v12
	v_mul_hi_u32 v10, v5, v13
	s_nop 0
	v_addc_co_u32_e32 v8, vcc, v9, v11, vcc
	v_mov_b32_e32 v9, v4
	s_nop 0
	v_addc_co_u32_e32 v11, vcc, 0, v10, vcc
	v_mul_lo_u32 v10, v5, v13
	v_lshl_add_u64 v[8:9], v[8:9], 0, v[10:11]
	v_add_co_u32_e32 v1, vcc, v1, v8
	v_mul_lo_u32 v10, s2, v1
	s_nop 0
	v_addc_co_u32_e32 v5, vcc, v5, v9, vcc
	v_mul_lo_u32 v8, s2, v5
	v_mul_hi_u32 v9, s2, v1
	v_add_u32_e32 v8, v9, v8
	v_mul_lo_u32 v9, s3, v1
	v_add_u32_e32 v12, v8, v9
	v_mul_hi_u32 v14, v5, v10
	v_mul_lo_u32 v15, v5, v10
	v_mul_hi_u32 v9, v1, v12
	v_mul_lo_u32 v8, v1, v12
	v_mul_hi_u32 v10, v1, v10
	v_mov_b32_e32 v11, v4
	v_lshl_add_u64 v[8:9], v[10:11], 0, v[8:9]
	v_add_co_u32_e32 v8, vcc, v8, v15
	v_mul_hi_u32 v13, v5, v12
	s_nop 0
	v_addc_co_u32_e32 v8, vcc, v9, v14, vcc
	v_mul_lo_u32 v10, v5, v12
	s_nop 0
	v_addc_co_u32_e32 v11, vcc, 0, v13, vcc
	v_mov_b32_e32 v9, v4
	v_lshl_add_u64 v[8:9], v[8:9], 0, v[10:11]
	v_add_co_u32_e32 v1, vcc, v1, v8
	v_mul_hi_u32 v10, v6, v1
	s_nop 0
	v_addc_co_u32_e32 v5, vcc, v5, v9, vcc
	v_mad_u64_u32 v[8:9], s[2:3], v6, v5, 0
	v_mov_b32_e32 v11, v4
	v_lshl_add_u64 v[8:9], v[10:11], 0, v[8:9]
	v_mad_u64_u32 v[12:13], s[2:3], v7, v1, 0
	v_add_co_u32_e32 v1, vcc, v8, v12
	v_mad_u64_u32 v[10:11], s[2:3], v7, v5, 0
	s_nop 0
	v_addc_co_u32_e32 v8, vcc, v9, v13, vcc
	v_mov_b32_e32 v9, v4
	s_nop 0
	v_addc_co_u32_e32 v11, vcc, 0, v11, vcc
	v_lshl_add_u64 v[8:9], v[8:9], 0, v[10:11]
	v_mul_lo_u32 v1, s19, v8
	v_mul_lo_u32 v5, s18, v9
	v_mad_u64_u32 v[10:11], s[2:3], s18, v8, 0
	v_add3_u32 v1, v11, v5, v1
	v_sub_u32_e32 v5, v7, v1
	v_mov_b32_e32 v11, s19
	v_sub_co_u32_e32 v14, vcc, v6, v10
	v_lshl_add_u64 v[12:13], v[8:9], 0, 1
	s_nop 0
	v_subb_co_u32_e64 v5, s[2:3], v5, v11, vcc
	v_subrev_co_u32_e64 v10, s[2:3], s18, v14
	v_subb_co_u32_e32 v1, vcc, v7, v1, vcc
	s_nop 0
	v_subbrev_co_u32_e64 v5, s[2:3], 0, v5, s[2:3]
	v_cmp_le_u32_e64 s[2:3], s19, v5
	v_cmp_le_u32_e32 vcc, s19, v1
	s_nop 0
	v_cndmask_b32_e64 v11, 0, -1, s[2:3]
	v_cmp_le_u32_e64 s[2:3], s18, v10
	s_nop 1
	v_cndmask_b32_e64 v10, 0, -1, s[2:3]
	v_cmp_eq_u32_e64 s[2:3], s19, v5
	s_nop 1
	v_cndmask_b32_e64 v5, v11, v10, s[2:3]
	v_lshl_add_u64 v[10:11], v[8:9], 0, 2
	v_cmp_ne_u32_e64 s[2:3], 0, v5
	s_nop 1
	v_cndmask_b32_e64 v5, v13, v11, s[2:3]
	v_cndmask_b32_e64 v11, 0, -1, vcc
	v_cmp_le_u32_e32 vcc, s18, v14
	s_nop 1
	v_cndmask_b32_e64 v13, 0, -1, vcc
	v_cmp_eq_u32_e32 vcc, s19, v1
	s_nop 1
	v_cndmask_b32_e32 v1, v11, v13, vcc
	v_cmp_ne_u32_e32 vcc, 0, v1
	v_cndmask_b32_e64 v1, v12, v10, s[2:3]
	s_nop 0
	v_cndmask_b32_e32 v9, v9, v5, vcc
	v_cndmask_b32_e32 v8, v8, v1, vcc
.LBB0_4:                                ;   in Loop: Header=BB0_2 Depth=1
	s_andn2_saveexec_b64 s[2:3], s[20:21]
	s_cbranch_execz .LBB0_6
; %bb.5:                                ;   in Loop: Header=BB0_2 Depth=1
	v_cvt_f32_u32_e32 v1, s18
	s_sub_i32 s20, 0, s18
	v_rcp_iflag_f32_e32 v1, v1
	s_nop 0
	v_mul_f32_e32 v1, 0x4f7ffffe, v1
	v_cvt_u32_f32_e32 v1, v1
	v_mul_lo_u32 v5, s20, v1
	v_mul_hi_u32 v5, v1, v5
	v_add_u32_e32 v1, v1, v5
	v_mul_hi_u32 v1, v6, v1
	v_mul_lo_u32 v5, v1, s18
	v_sub_u32_e32 v5, v6, v5
	v_add_u32_e32 v8, 1, v1
	v_subrev_u32_e32 v9, s18, v5
	v_cmp_le_u32_e32 vcc, s18, v5
	s_nop 1
	v_cndmask_b32_e32 v5, v5, v9, vcc
	v_cndmask_b32_e32 v1, v1, v8, vcc
	v_add_u32_e32 v8, 1, v1
	v_cmp_le_u32_e32 vcc, s18, v5
	v_mov_b32_e32 v9, v4
	s_nop 0
	v_cndmask_b32_e32 v8, v1, v8, vcc
.LBB0_6:                                ;   in Loop: Header=BB0_2 Depth=1
	s_or_b64 exec, exec, s[2:3]
	v_mad_u64_u32 v[10:11], s[2:3], v8, s18, 0
	s_load_dwordx2 s[2:3], s[12:13], 0x0
	v_mul_lo_u32 v1, v9, s18
	v_mul_lo_u32 v5, v8, s19
	v_add3_u32 v1, v11, v5, v1
	v_sub_co_u32_e32 v5, vcc, v6, v10
	s_add_u32 s14, s14, 1
	s_nop 0
	v_subb_co_u32_e32 v1, vcc, v7, v1, vcc
	s_addc_u32 s15, s15, 0
	s_waitcnt lgkmcnt(0)
	v_mul_lo_u32 v1, s2, v1
	v_mul_lo_u32 v6, s3, v5
	v_mad_u64_u32 v[2:3], s[2:3], s2, v5, v[2:3]
	s_add_u32 s12, s12, 8
	v_add3_u32 v3, v6, v3, v1
	s_addc_u32 s13, s13, 0
	v_mov_b64_e32 v[6:7], s[6:7]
	s_add_u32 s16, s16, 8
	v_cmp_ge_u64_e32 vcc, s[14:15], v[6:7]
	s_addc_u32 s17, s17, 0
	s_cbranch_vccnz .LBB0_9
; %bb.7:                                ;   in Loop: Header=BB0_2 Depth=1
	v_mov_b64_e32 v[6:7], v[8:9]
	s_branch .LBB0_2
.LBB0_8:
	v_mov_b64_e32 v[8:9], v[6:7]
.LBB0_9:
	s_lshl_b64 s[2:3], s[6:7], 3
	s_add_u32 s2, s10, s2
	s_addc_u32 s3, s11, s3
	s_load_dwordx2 s[6:7], s[2:3], 0x0
	s_load_dwordx2 s[10:11], s[0:1], 0x20
	s_mov_b32 s2, 0x1a41a42
                                        ; implicit-def: $vgpr24_vgpr25
                                        ; implicit-def: $vgpr20
                                        ; implicit-def: $vgpr22
	s_waitcnt lgkmcnt(0)
	v_mul_lo_u32 v1, s6, v9
	v_mul_lo_u32 v4, s7, v8
	v_mad_u64_u32 v[2:3], s[0:1], s6, v8, v[2:3]
	v_add3_u32 v3, v4, v3, v1
	v_mul_hi_u32 v1, v0, s2
	v_mul_u32_u24_e32 v1, 0x9c, v1
	v_cmp_gt_u64_e64 s[0:1], s[10:11], v[8:9]
	v_cmp_le_u64_e32 vcc, s[10:11], v[8:9]
	v_sub_u32_e32 v16, v0, v1
	s_and_saveexec_b64 s[2:3], vcc
	s_xor_b64 s[2:3], exec, s[2:3]
; %bb.10:
	v_add_u32_e32 v24, 0x138, v16
	v_add_u32_e32 v20, 0x9c, v16
	;; [unrolled: 1-line block ×3, first 2 shown]
	v_mov_b32_e32 v22, v24
; %bb.11:
	s_or_saveexec_b64 s[2:3], s[2:3]
	v_lshl_add_u64 v[18:19], v[2:3], 3, s[8:9]
	v_lshl_add_u32 v102, v16, 3, 0
	s_xor_b64 exec, exec, s[2:3]
	s_cbranch_execz .LBB0_13
; %bb.12:
	v_mov_b32_e32 v17, 0
	v_add_u32_e32 v22, 0x138, v16
	v_add_u32_e32 v23, 0x1d4, v16
	v_mov_b32_e32 v2, v22
	v_mov_b32_e32 v3, v17
	v_lshl_add_u64 v[0:1], v[16:17], 3, v[18:19]
	v_lshl_add_u64 v[2:3], v[2:3], 3, v[18:19]
	v_mov_b32_e32 v4, v23
	v_mov_b32_e32 v5, v17
	s_movk_i32 s6, 0x1000
	v_lshl_add_u64 v[4:5], v[4:5], 3, v[18:19]
	global_load_dwordx2 v[6:7], v[0:1], off
	global_load_dwordx2 v[8:9], v[0:1], off offset:1248
	global_load_dwordx2 v[10:11], v[2:3], off
	global_load_dwordx2 v[12:13], v[4:5], off
	v_add_co_u32_e32 v2, vcc, s6, v0
	s_movk_i32 s6, 0x2000
	s_nop 0
	v_addc_co_u32_e32 v3, vcc, 0, v1, vcc
	v_add_co_u32_e32 v4, vcc, s6, v0
	v_add_u32_e32 v20, 0x9c, v16
	s_nop 0
	v_addc_co_u32_e32 v5, vcc, 0, v1, vcc
	v_add_co_u32_e32 v0, vcc, 0x3000, v0
	global_load_dwordx2 v[14:15], v[2:3], off offset:896
	global_load_dwordx2 v[24:25], v[2:3], off offset:2144
	;; [unrolled: 1-line block ×4, first 2 shown]
	v_addc_co_u32_e32 v1, vcc, 0, v1, vcc
	global_load_dwordx2 v[2:3], v[4:5], off offset:1792
	global_load_dwordx2 v[30:31], v[4:5], off offset:3040
	;; [unrolled: 1-line block ×5, first 2 shown]
	v_add_u32_e32 v0, 0x1200, v102
	v_add_u32_e32 v1, 0x1c00, v102
	;; [unrolled: 1-line block ×4, first 2 shown]
	v_lshl_add_u32 v17, v22, 3, 0
	v_lshl_add_u32 v21, v23, 3, 0
	s_waitcnt vmcnt(11)
	ds_write2_b64 v102, v[6:7], v[8:9] offset1:156
	s_waitcnt vmcnt(10)
	ds_write_b64 v17, v[10:11]
	s_waitcnt vmcnt(9)
	ds_write_b64 v21, v[12:13]
	s_waitcnt vmcnt(7)
	ds_write2_b64 v0, v[14:15], v[24:25] offset0:48 offset1:204
	s_waitcnt vmcnt(5)
	ds_write2_b64 v1, v[26:27], v[28:29] offset0:40 offset1:196
	;; [unrolled: 2-line block ×4, first 2 shown]
	s_waitcnt vmcnt(0)
	ds_write_b64 v102, v[36:37] offset:14976
	v_mov_b64_e32 v[24:25], v[22:23]
.LBB0_13:
	s_or_b64 exec, exec, s[2:3]
	v_add_u32_e32 v0, 0x800, v102
	s_waitcnt lgkmcnt(0)
	s_barrier
	ds_read2_b64 v[8:11], v0 offset0:56 offset1:212
	v_add_u32_e32 v0, 0x1200, v102
	ds_read2_b64 v[26:29], v0 offset0:48 offset1:204
	v_add_u32_e32 v0, 0x1c00, v102
	;; [unrolled: 2-line block ×3, first 2 shown]
	ds_read2_b64 v[0:3], v102 offset1:156
	ds_read2_b64 v[30:33], v17 offset0:96 offset1:252
	v_add_u32_e32 v4, 0x3000, v102
	ds_read2_b64 v[12:15], v4 offset0:24 offset1:180
	ds_read_b64 v[4:5], v102 offset:14976
	s_mov_b32 s2, 0xbeedf032
	s_waitcnt lgkmcnt(3)
	v_pk_add_f32 v[6:7], v[0:1], v[2:3]
	s_mov_b32 s8, 0x3f62ad3f
	v_pk_add_f32 v[6:7], v[6:7], v[8:9]
	s_waitcnt lgkmcnt(0)
	v_pk_add_f32 v[36:37], v[2:3], v[4:5] neg_lo:[0,1] neg_hi:[0,1]
	v_pk_add_f32 v[6:7], v[6:7], v[10:11]
	v_pk_add_f32 v[34:35], v[4:5], v[2:3]
	;; [unrolled: 1-line block ×3, first 2 shown]
	v_pk_mul_f32 v[2:3], v[36:37], s[2:3] op_sel_hi:[1,0]
	v_pk_add_f32 v[6:7], v[6:7], v[28:29]
	v_pk_add_f32 v[40:41], v[8:9], v[14:15] neg_lo:[0,1] neg_hi:[0,1]
	v_pk_add_f32 v[6:7], v[6:7], v[46:47]
	s_mov_b32 s14, 0xbf52af12
	v_pk_add_f32 v[6:7], v[6:7], v[48:49]
	v_pk_add_f32 v[38:39], v[14:15], v[8:9]
	;; [unrolled: 1-line block ×3, first 2 shown]
	s_mov_b32 s2, 0x3f116cb1
	v_pk_add_f32 v[6:7], v[6:7], v[32:33]
	v_pk_add_f32 v[44:45], v[10:11], v[12:13] neg_lo:[0,1] neg_hi:[0,1]
	v_pk_add_f32 v[6:7], v[6:7], v[12:13]
	s_mov_b32 s22, 0xbf7e222b
	v_pk_add_f32 v[6:7], v[6:7], v[14:15]
	s_mov_b32 s6, 0x3df6dbef
	v_pk_add_f32 v[50:51], v[6:7], v[4:5]
	v_pk_fma_f32 v[4:5], v[34:35], s[8:9], v[2:3] op_sel:[0,0,1] op_sel_hi:[1,0,0]
	v_pk_fma_f32 v[2:3], v[34:35], s[8:9], v[2:3] op_sel:[0,0,1] op_sel_hi:[1,0,0] neg_lo:[0,0,1] neg_hi:[0,0,1]
	v_mov_b32_e32 v6, v4
	v_mov_b32_e32 v7, v3
	v_pk_add_f32 v[42:43], v[0:1], v[6:7]
	v_pk_mul_f32 v[6:7], v[40:41], s[14:15] op_sel_hi:[1,0]
	v_pk_add_f32 v[56:57], v[26:27], v[32:33] neg_lo:[0,1] neg_hi:[0,1]
	v_pk_fma_f32 v[8:9], v[38:39], s[2:3], v[6:7] op_sel:[0,0,1] op_sel_hi:[1,0,0]
	v_pk_fma_f32 v[6:7], v[38:39], s[2:3], v[6:7] op_sel:[0,0,1] op_sel_hi:[1,0,0] neg_lo:[0,0,1] neg_hi:[0,0,1]
	v_mov_b32_e32 v14, v8
	v_mov_b32_e32 v15, v7
	v_pk_add_f32 v[14:15], v[14:15], v[42:43]
	v_pk_add_f32 v[42:43], v[12:13], v[10:11]
	v_pk_mul_f32 v[12:13], v[44:45], s[22:23] op_sel_hi:[1,0]
	s_mov_b32 s12, 0xbf6f5d39
	v_pk_fma_f32 v[10:11], v[42:43], s[6:7], v[12:13] op_sel:[0,0,1] op_sel_hi:[1,0,0]
	v_pk_fma_f32 v[12:13], v[42:43], s[6:7], v[12:13] op_sel:[0,0,1] op_sel_hi:[1,0,0] neg_lo:[0,0,1] neg_hi:[0,0,1]
	v_mov_b32_e32 v52, v10
	v_mov_b32_e32 v53, v13
	v_pk_add_f32 v[54:55], v[32:33], v[26:27]
	s_mov_b32 s10, 0xbeb58ec6
	v_pk_mul_f32 v[26:27], v[56:57], s[12:13] op_sel_hi:[1,0]
	v_pk_add_f32 v[52:53], v[52:53], v[14:15]
	v_pk_add_f32 v[68:69], v[28:29], v[30:31] neg_lo:[0,1] neg_hi:[0,1]
	v_pk_fma_f32 v[14:15], v[54:55], s[10:11], v[26:27] op_sel:[0,0,1] op_sel_hi:[1,0,0]
	v_pk_fma_f32 v[26:27], v[54:55], s[10:11], v[26:27] op_sel:[0,0,1] op_sel_hi:[1,0,0] neg_lo:[0,0,1] neg_hi:[0,0,1]
	s_mov_b32 s18, 0xbf29c268
	v_pk_add_f32 v[62:63], v[30:31], v[28:29]
	v_mov_b32_e32 v28, v14
	v_mov_b32_e32 v29, v27
	s_mov_b32 s16, 0xbf3f9e67
	v_pk_mul_f32 v[30:31], v[68:69], s[18:19] op_sel_hi:[1,0]
	v_pk_add_f32 v[32:33], v[28:29], v[52:53]
	v_pk_fma_f32 v[28:29], v[62:63], s[16:17], v[30:31] op_sel:[0,0,1] op_sel_hi:[1,0,0]
	v_pk_fma_f32 v[30:31], v[62:63], s[16:17], v[30:31] op_sel:[0,0,1] op_sel_hi:[1,0,0] neg_lo:[0,0,1] neg_hi:[0,0,1]
	s_mov_b32 s20, 0xbe750f2a
	v_mov_b32_e32 v52, v28
	v_mov_b32_e32 v53, v31
	v_pk_add_f32 v[76:77], v[48:49], v[46:47]
	v_pk_add_f32 v[78:79], v[46:47], v[48:49] neg_lo:[0,1] neg_hi:[0,1]
	s_mov_b32 s21, 0xbf788fa5
	v_pk_add_f32 v[52:53], v[52:53], v[32:33]
	v_mov_b32_e32 v32, v76
	v_mov_b32_e32 v33, v78
	s_mov_b32 s24, s21
	s_mov_b32 s25, s20
	v_mov_b32_e32 v46, v79
	v_mov_b32_e32 v47, v77
	v_pk_mul_f32 v[48:49], v[32:33], s[24:25]
	s_movk_i32 s3, 0x60
	v_pk_fma_f32 v[32:33], v[46:47], s[20:21], v[48:49] neg_lo:[1,0,0] neg_hi:[1,0,0]
	v_pk_fma_f32 v[58:59], v[46:47], s[20:21], v[48:49]
	v_pk_fma_f32 v[46:47], v[46:47], s[20:21], v[48:49] neg_lo:[0,0,1] neg_hi:[0,0,1]
	v_mov_b32_e32 v33, v59
	v_mov_b32_e32 v59, v47
	v_pk_add_f32 v[46:47], v[58:59], v[52:53]
	v_mad_u32_u24 v4, v16, s3, v102
	v_pk_mul_f32 v[48:49], v[36:37], s[14:15] op_sel_hi:[1,0]
	s_barrier
	ds_write2_b64 v4, v[50:51], v[46:47] offset1:1
	v_pk_fma_f32 v[46:47], v[34:35], s[2:3], v[48:49] op_sel:[0,0,1] op_sel_hi:[1,0,0]
	v_pk_fma_f32 v[48:49], v[34:35], s[2:3], v[48:49] op_sel:[0,0,1] op_sel_hi:[1,0,0] neg_lo:[0,0,1] neg_hi:[0,0,1]
	v_mov_b32_e32 v50, v46
	v_mov_b32_e32 v51, v49
	v_pk_mul_f32 v[52:53], v[40:41], s[12:13] op_sel_hi:[1,0]
	v_pk_add_f32 v[58:59], v[0:1], v[50:51]
	v_pk_fma_f32 v[50:51], v[38:39], s[10:11], v[52:53] op_sel:[0,0,1] op_sel_hi:[1,0,0]
	v_pk_fma_f32 v[52:53], v[38:39], s[10:11], v[52:53] op_sel:[0,0,1] op_sel_hi:[1,0,0] neg_lo:[0,0,1] neg_hi:[0,0,1]
	v_mov_b32_e32 v60, v50
	v_mov_b32_e32 v61, v53
	v_pk_add_f32 v[64:65], v[60:61], v[58:59]
	s_mov_b32 s26, s21
	v_pk_mul_f32 v[60:61], v[44:45], s[20:21] op_sel_hi:[1,0]
	s_mov_b32 s30, 0x3f29c268
	v_pk_fma_f32 v[58:59], v[42:43], s[26:27], v[60:61] op_sel:[0,0,1] op_sel_hi:[1,0,0]
	v_pk_fma_f32 v[60:61], v[42:43], s[26:27], v[60:61] op_sel:[0,0,1] op_sel_hi:[1,0,0] neg_lo:[0,0,1] neg_hi:[0,0,1]
	v_mov_b32_e32 v66, v58
	v_mov_b32_e32 v67, v61
	v_pk_add_f32 v[70:71], v[66:67], v[64:65]
	v_pk_mul_f32 v[66:67], v[56:57], s[30:31] op_sel_hi:[1,0]
	s_mov_b32 s24, 0x3f7e222b
	v_pk_fma_f32 v[64:65], v[54:55], s[16:17], v[66:67] op_sel:[0,0,1] op_sel_hi:[1,0,0]
	v_pk_fma_f32 v[66:67], v[54:55], s[16:17], v[66:67] op_sel:[0,0,1] op_sel_hi:[1,0,0] neg_lo:[0,0,1] neg_hi:[0,0,1]
	v_mov_b32_e32 v72, v64
	v_mov_b32_e32 v73, v67
	v_pk_add_f32 v[74:75], v[72:73], v[70:71]
	;; [unrolled: 7-line block ×3, first 2 shown]
	v_pk_mul_f32 v[74:75], v[78:79], s[28:29] op_sel_hi:[1,0]
	v_pk_mul_f32 v[90:91], v[40:41], s[20:21] op_sel_hi:[1,0]
	v_pk_fma_f32 v[80:81], v[76:77], s[8:9], v[74:75] op_sel:[0,0,1] op_sel_hi:[1,0,0]
	v_pk_fma_f32 v[74:75], v[76:77], s[8:9], v[74:75] op_sel:[0,0,1] op_sel_hi:[1,0,0] neg_lo:[0,0,1] neg_hi:[0,0,1]
	v_mov_b32_e32 v84, v80
	v_mov_b32_e32 v85, v75
	v_pk_add_f32 v[84:85], v[84:85], v[82:83]
	v_pk_mul_f32 v[82:83], v[36:37], s[22:23] op_sel_hi:[1,0]
	v_pk_fma_f32 v[92:93], v[38:39], s[26:27], v[90:91] op_sel:[0,0,1] op_sel_hi:[1,0,0]
	v_pk_fma_f32 v[86:87], v[34:35], s[6:7], v[82:83] op_sel:[0,0,1] op_sel_hi:[1,0,0]
	v_pk_fma_f32 v[82:83], v[34:35], s[6:7], v[82:83] op_sel:[0,0,1] op_sel_hi:[1,0,0] neg_lo:[0,0,1] neg_hi:[0,0,1]
	v_mov_b32_e32 v88, v86
	v_mov_b32_e32 v89, v83
	v_pk_fma_f32 v[90:91], v[38:39], s[26:27], v[90:91] op_sel:[0,0,1] op_sel_hi:[1,0,0] neg_lo:[0,0,1] neg_hi:[0,0,1]
	v_pk_add_f32 v[88:89], v[0:1], v[88:89]
	v_mov_b32_e32 v94, v92
	v_mov_b32_e32 v95, v91
	s_mov_b32 s34, 0x3f6f5d39
	v_pk_add_f32 v[88:89], v[94:95], v[88:89]
	v_pk_mul_f32 v[94:95], v[44:45], s[34:35] op_sel_hi:[1,0]
	v_pk_mul_f32 v[114:115], v[40:41], s[30:31] op_sel_hi:[1,0]
	v_pk_fma_f32 v[96:97], v[42:43], s[10:11], v[94:95] op_sel:[0,0,1] op_sel_hi:[1,0,0]
	v_pk_fma_f32 v[94:95], v[42:43], s[10:11], v[94:95] op_sel:[0,0,1] op_sel_hi:[1,0,0] neg_lo:[0,0,1] neg_hi:[0,0,1]
	v_mov_b32_e32 v98, v96
	v_mov_b32_e32 v99, v95
	v_pk_add_f32 v[88:89], v[98:99], v[88:89]
	v_pk_mul_f32 v[98:99], v[56:57], s[28:29] op_sel_hi:[1,0]
	v_pk_fma_f32 v[116:117], v[38:39], s[16:17], v[114:115] op_sel:[0,0,1] op_sel_hi:[1,0,0]
	v_pk_fma_f32 v[100:101], v[54:55], s[8:9], v[98:99] op_sel:[0,0,1] op_sel_hi:[1,0,0]
	v_pk_fma_f32 v[98:99], v[54:55], s[8:9], v[98:99] op_sel:[0,0,1] op_sel_hi:[1,0,0] neg_lo:[0,0,1] neg_hi:[0,0,1]
	v_mov_b32_e32 v104, v100
	v_mov_b32_e32 v105, v99
	v_pk_add_f32 v[88:89], v[104:105], v[88:89]
	v_pk_mul_f32 v[104:105], v[68:69], s[14:15] op_sel_hi:[1,0]
	v_pk_fma_f32 v[114:115], v[38:39], s[16:17], v[114:115] op_sel:[0,0,1] op_sel_hi:[1,0,0] neg_lo:[0,0,1] neg_hi:[0,0,1]
	v_pk_fma_f32 v[106:107], v[62:63], s[2:3], v[104:105] op_sel:[0,0,1] op_sel_hi:[1,0,0]
	v_pk_fma_f32 v[104:105], v[62:63], s[2:3], v[104:105] op_sel:[0,0,1] op_sel_hi:[1,0,0] neg_lo:[0,0,1] neg_hi:[0,0,1]
	v_mov_b32_e32 v108, v106
	v_mov_b32_e32 v109, v105
	v_pk_add_f32 v[88:89], v[108:109], v[88:89]
	v_pk_mul_f32 v[108:109], v[78:79], s[18:19] op_sel_hi:[1,0]
	v_mov_b32_e32 v118, v116
	v_pk_fma_f32 v[110:111], v[76:77], s[16:17], v[108:109] op_sel:[0,0,1] op_sel_hi:[1,0,0]
	v_pk_fma_f32 v[108:109], v[76:77], s[16:17], v[108:109] op_sel:[0,0,1] op_sel_hi:[1,0,0] neg_lo:[0,0,1] neg_hi:[0,0,1]
	v_mov_b32_e32 v112, v110
	v_mov_b32_e32 v113, v109
	v_pk_add_f32 v[88:89], v[112:113], v[88:89]
	ds_write2_b64 v4, v[84:85], v[88:89] offset0:2 offset1:3
	v_pk_mul_f32 v[84:85], v[36:37], s[12:13] op_sel_hi:[1,0]
	v_mov_b32_e32 v119, v115
	v_pk_fma_f32 v[88:89], v[34:35], s[10:11], v[84:85] op_sel:[0,0,1] op_sel_hi:[1,0,0]
	v_pk_fma_f32 v[84:85], v[34:35], s[10:11], v[84:85] op_sel:[0,0,1] op_sel_hi:[1,0,0] neg_lo:[0,0,1] neg_hi:[0,0,1]
	v_mov_b32_e32 v112, v88
	v_mov_b32_e32 v113, v85
	v_pk_add_f32 v[112:113], v[0:1], v[112:113]
	s_mov_b32 s30, 0x3f52af12
	v_pk_add_f32 v[112:113], v[118:119], v[112:113]
	v_pk_mul_f32 v[118:119], v[44:45], s[28:29] op_sel_hi:[1,0]
	v_pk_mul_f32 v[140:141], v[40:41], s[24:25] op_sel_hi:[1,0]
	v_pk_fma_f32 v[120:121], v[42:43], s[8:9], v[118:119] op_sel:[0,0,1] op_sel_hi:[1,0,0]
	v_pk_fma_f32 v[118:119], v[42:43], s[8:9], v[118:119] op_sel:[0,0,1] op_sel_hi:[1,0,0] neg_lo:[0,0,1] neg_hi:[0,0,1]
	v_mov_b32_e32 v122, v120
	v_mov_b32_e32 v123, v119
	v_pk_add_f32 v[112:113], v[122:123], v[112:113]
	v_pk_mul_f32 v[122:123], v[56:57], s[22:23] op_sel_hi:[1,0]
	s_mov_b32 s22, 0x3e750f2a
	v_pk_fma_f32 v[124:125], v[54:55], s[6:7], v[122:123] op_sel:[0,0,1] op_sel_hi:[1,0,0]
	v_pk_fma_f32 v[122:123], v[54:55], s[6:7], v[122:123] op_sel:[0,0,1] op_sel_hi:[1,0,0] neg_lo:[0,0,1] neg_hi:[0,0,1]
	v_mov_b32_e32 v126, v124
	v_mov_b32_e32 v127, v123
	v_pk_add_f32 v[112:113], v[126:127], v[112:113]
	v_pk_mul_f32 v[126:127], v[68:69], s[22:23] op_sel_hi:[1,0]
	v_pk_fma_f32 v[142:143], v[38:39], s[6:7], v[140:141] op_sel:[0,0,1] op_sel_hi:[1,0,0]
	v_pk_fma_f32 v[128:129], v[62:63], s[26:27], v[126:127] op_sel:[0,0,1] op_sel_hi:[1,0,0]
	v_pk_fma_f32 v[126:127], v[62:63], s[26:27], v[126:127] op_sel:[0,0,1] op_sel_hi:[1,0,0] neg_lo:[0,0,1] neg_hi:[0,0,1]
	v_mov_b32_e32 v130, v128
	v_mov_b32_e32 v131, v127
	v_pk_add_f32 v[112:113], v[130:131], v[112:113]
	v_pk_mul_f32 v[130:131], v[78:79], s[30:31] op_sel_hi:[1,0]
	v_pk_fma_f32 v[140:141], v[38:39], s[6:7], v[140:141] op_sel:[0,0,1] op_sel_hi:[1,0,0] neg_lo:[0,0,1] neg_hi:[0,0,1]
	v_pk_fma_f32 v[132:133], v[76:77], s[2:3], v[130:131] op_sel:[0,0,1] op_sel_hi:[1,0,0]
	v_pk_fma_f32 v[130:131], v[76:77], s[2:3], v[130:131] op_sel:[0,0,1] op_sel_hi:[1,0,0] neg_lo:[0,0,1] neg_hi:[0,0,1]
	v_mov_b32_e32 v134, v132
	v_mov_b32_e32 v135, v131
	v_pk_add_f32 v[112:113], v[134:135], v[112:113]
	v_pk_mul_f32 v[134:135], v[36:37], s[18:19] op_sel_hi:[1,0]
	v_mov_b32_e32 v144, v142
	v_pk_fma_f32 v[136:137], v[34:35], s[16:17], v[134:135] op_sel:[0,0,1] op_sel_hi:[1,0,0]
	v_pk_fma_f32 v[134:135], v[34:35], s[16:17], v[134:135] op_sel:[0,0,1] op_sel_hi:[1,0,0] neg_lo:[0,0,1] neg_hi:[0,0,1]
	v_mov_b32_e32 v138, v136
	v_mov_b32_e32 v139, v135
	v_pk_add_f32 v[138:139], v[0:1], v[138:139]
	v_mov_b32_e32 v145, v141
	v_pk_add_f32 v[138:139], v[144:145], v[138:139]
	v_pk_mul_f32 v[144:145], v[44:45], s[14:15] op_sel_hi:[1,0]
	v_pk_mul_f32 v[36:37], v[36:37], s[20:21] op_sel_hi:[1,0]
	v_pk_fma_f32 v[146:147], v[42:43], s[2:3], v[144:145] op_sel:[0,0,1] op_sel_hi:[1,0,0]
	v_pk_fma_f32 v[144:145], v[42:43], s[2:3], v[144:145] op_sel:[0,0,1] op_sel_hi:[1,0,0] neg_lo:[0,0,1] neg_hi:[0,0,1]
	v_mov_b32_e32 v148, v146
	v_mov_b32_e32 v149, v145
	v_pk_add_f32 v[138:139], v[148:149], v[138:139]
	v_pk_mul_f32 v[148:149], v[56:57], s[22:23] op_sel_hi:[1,0]
	v_pk_mul_f32 v[44:45], v[44:45], s[18:19] op_sel_hi:[1,0]
	v_pk_fma_f32 v[150:151], v[54:55], s[26:27], v[148:149] op_sel:[0,0,1] op_sel_hi:[1,0,0]
	v_pk_fma_f32 v[148:149], v[54:55], s[26:27], v[148:149] op_sel:[0,0,1] op_sel_hi:[1,0,0] neg_lo:[0,0,1] neg_hi:[0,0,1]
	v_mov_b32_e32 v152, v150
	v_mov_b32_e32 v153, v149
	v_pk_add_f32 v[138:139], v[152:153], v[138:139]
	v_pk_mul_f32 v[152:153], v[68:69], s[28:29] op_sel_hi:[1,0]
	v_mov_b32_e32 v3, v5
	v_pk_fma_f32 v[154:155], v[62:63], s[8:9], v[152:153] op_sel:[0,0,1] op_sel_hi:[1,0,0]
	v_pk_fma_f32 v[152:153], v[62:63], s[8:9], v[152:153] op_sel:[0,0,1] op_sel_hi:[1,0,0] neg_lo:[0,0,1] neg_hi:[0,0,1]
	v_mov_b32_e32 v156, v154
	v_mov_b32_e32 v157, v153
	v_pk_add_f32 v[138:139], v[156:157], v[138:139]
	v_pk_mul_f32 v[156:157], v[78:79], s[12:13] op_sel_hi:[1,0]
	v_mov_b32_e32 v7, v9
	v_pk_fma_f32 v[158:159], v[76:77], s[10:11], v[156:157] op_sel:[0,0,1] op_sel_hi:[1,0,0]
	v_pk_fma_f32 v[156:157], v[76:77], s[10:11], v[156:157] op_sel:[0,0,1] op_sel_hi:[1,0,0] neg_lo:[0,0,1] neg_hi:[0,0,1]
	v_mov_b32_e32 v160, v158
	v_mov_b32_e32 v161, v157
	v_pk_add_f32 v[138:139], v[160:161], v[138:139]
	ds_write2_b64 v4, v[112:113], v[138:139] offset0:4 offset1:5
	v_pk_fma_f32 v[112:113], v[34:35], s[26:27], v[36:37] op_sel:[0,0,1] op_sel_hi:[1,0,0]
	v_pk_fma_f32 v[34:35], v[34:35], s[26:27], v[36:37] op_sel:[0,0,1] op_sel_hi:[1,0,0] neg_lo:[0,0,1] neg_hi:[0,0,1]
	v_pk_mul_f32 v[36:37], v[40:41], s[28:29] op_sel_hi:[1,0]
	v_pk_add_f32 v[2:3], v[0:1], v[2:3]
	v_pk_fma_f32 v[40:41], v[38:39], s[8:9], v[36:37] op_sel:[0,0,1] op_sel_hi:[1,0,0]
	v_pk_fma_f32 v[36:37], v[38:39], s[8:9], v[36:37] op_sel:[0,0,1] op_sel_hi:[1,0,0] neg_lo:[0,0,1] neg_hi:[0,0,1]
	v_mov_b32_e32 v38, v112
	v_mov_b32_e32 v39, v35
	v_pk_add_f32 v[38:39], v[0:1], v[38:39]
	v_mov_b32_e32 v138, v40
	v_mov_b32_e32 v139, v37
	v_pk_add_f32 v[38:39], v[138:139], v[38:39]
	v_pk_fma_f32 v[138:139], v[42:43], s[16:17], v[44:45] op_sel:[0,0,1] op_sel_hi:[1,0,0]
	v_pk_fma_f32 v[42:43], v[42:43], s[16:17], v[44:45] op_sel:[0,0,1] op_sel_hi:[1,0,0] neg_lo:[0,0,1] neg_hi:[0,0,1]
	v_mov_b32_e32 v44, v138
	v_mov_b32_e32 v45, v43
	v_pk_add_f32 v[38:39], v[44:45], v[38:39]
	v_pk_mul_f32 v[44:45], v[56:57], s[30:31] op_sel_hi:[1,0]
	v_mov_b32_e32 v35, v113
	v_pk_fma_f32 v[56:57], v[54:55], s[2:3], v[44:45] op_sel:[0,0,1] op_sel_hi:[1,0,0]
	v_pk_fma_f32 v[44:45], v[54:55], s[2:3], v[44:45] op_sel:[0,0,1] op_sel_hi:[1,0,0] neg_lo:[0,0,1] neg_hi:[0,0,1]
	v_mov_b32_e32 v54, v56
	v_mov_b32_e32 v55, v45
	v_pk_add_f32 v[38:39], v[54:55], v[38:39]
	v_pk_mul_f32 v[54:55], v[68:69], s[12:13] op_sel_hi:[1,0]
	v_mov_b32_e32 v37, v41
	v_pk_fma_f32 v[68:69], v[62:63], s[10:11], v[54:55] op_sel:[0,0,1] op_sel_hi:[1,0,0]
	v_pk_fma_f32 v[54:55], v[62:63], s[10:11], v[54:55] op_sel:[0,0,1] op_sel_hi:[1,0,0] neg_lo:[0,0,1] neg_hi:[0,0,1]
	v_pk_add_f32 v[34:35], v[0:1], v[34:35]
	v_mov_b32_e32 v62, v68
	v_mov_b32_e32 v63, v55
	v_pk_add_f32 v[34:35], v[36:37], v[34:35]
	v_mov_b32_e32 v43, v139
	v_pk_add_f32 v[38:39], v[62:63], v[38:39]
	v_pk_mul_f32 v[62:63], v[78:79], s[24:25] op_sel_hi:[1,0]
	v_pk_add_f32 v[34:35], v[42:43], v[34:35]
	v_mov_b32_e32 v45, v57
	v_pk_add_f32 v[2:3], v[6:7], v[2:3]
	v_mov_b32_e32 v13, v11
	v_pk_fma_f32 v[78:79], v[76:77], s[6:7], v[62:63] op_sel:[0,0,1] op_sel_hi:[1,0,0]
	v_pk_fma_f32 v[62:63], v[76:77], s[6:7], v[62:63] op_sel:[0,0,1] op_sel_hi:[1,0,0] neg_lo:[0,0,1] neg_hi:[0,0,1]
	v_pk_add_f32 v[34:35], v[44:45], v[34:35]
	v_mov_b32_e32 v55, v69
	v_pk_add_f32 v[2:3], v[12:13], v[2:3]
	v_mov_b32_e32 v27, v15
	v_mov_b32_e32 v76, v78
	;; [unrolled: 1-line block ×3, first 2 shown]
	v_pk_add_f32 v[34:35], v[54:55], v[34:35]
	v_mov_b32_e32 v63, v79
	v_pk_add_f32 v[2:3], v[26:27], v[2:3]
	v_mov_b32_e32 v31, v29
	v_pk_add_f32 v[38:39], v[76:77], v[38:39]
	v_pk_add_f32 v[34:35], v[62:63], v[34:35]
	v_mov_b32_e32 v135, v137
	v_mov_b32_e32 v85, v89
	v_pk_add_f32 v[2:3], v[30:31], v[2:3]
	v_mov_b32_e32 v83, v87
	v_mov_b32_e32 v49, v47
	ds_write2_b64 v4, v[38:39], v[34:35] offset0:6 offset1:7
	v_mov_b32_e32 v141, v143
	v_pk_add_f32 v[34:35], v[0:1], v[134:135]
	v_mov_b32_e32 v115, v117
	v_pk_add_f32 v[36:37], v[0:1], v[84:85]
	v_pk_add_f32 v[26:27], v[32:33], v[2:3]
	v_mov_b32_e32 v91, v93
	v_pk_add_f32 v[2:3], v[0:1], v[82:83]
	;; [unrolled: 3-line block ×3, first 2 shown]
	v_mov_b32_e32 v145, v147
	v_pk_add_f32 v[36:37], v[114:115], v[36:37]
	v_mov_b32_e32 v119, v121
	v_pk_add_f32 v[2:3], v[90:91], v[2:3]
	v_mov_b32_e32 v95, v97
	v_pk_add_f32 v[0:1], v[52:53], v[0:1]
	v_mov_b32_e32 v61, v59
	v_pk_add_f32 v[34:35], v[144:145], v[34:35]
	v_mov_b32_e32 v149, v151
	v_pk_add_f32 v[36:37], v[118:119], v[36:37]
	v_mov_b32_e32 v123, v125
	v_pk_add_f32 v[2:3], v[94:95], v[2:3]
	v_mov_b32_e32 v99, v101
	v_pk_add_f32 v[0:1], v[60:61], v[0:1]
	v_mov_b32_e32 v67, v65
	v_pk_add_f32 v[34:35], v[148:149], v[34:35]
	v_mov_b32_e32 v153, v155
	v_pk_add_f32 v[36:37], v[122:123], v[36:37]
	v_mov_b32_e32 v127, v129
	v_pk_add_f32 v[2:3], v[98:99], v[2:3]
	v_mov_b32_e32 v105, v107
	v_pk_add_f32 v[0:1], v[66:67], v[0:1]
	v_mov_b32_e32 v73, v71
	v_pk_add_f32 v[34:35], v[152:153], v[34:35]
	v_mov_b32_e32 v157, v159
	v_pk_add_f32 v[36:37], v[126:127], v[36:37]
	v_mov_b32_e32 v131, v133
	v_pk_add_f32 v[2:3], v[104:105], v[2:3]
	v_mov_b32_e32 v109, v111
	v_mov_b32_e32 v75, v81
	v_pk_add_f32 v[0:1], v[72:73], v[0:1]
	v_pk_add_f32 v[34:35], v[156:157], v[34:35]
	;; [unrolled: 1-line block ×5, first 2 shown]
	ds_write2_b64 v4, v[34:35], v[36:37] offset0:8 offset1:9
	ds_write2_b64 v4, v[2:3], v[0:1] offset0:10 offset1:11
	ds_write_b64 v4, v[26:27] offset:96
	v_add_u32_e32 v0, 0xe00, v102
	s_waitcnt lgkmcnt(0)
	s_barrier
	ds_read2_b64 v[8:11], v0 offset0:59 offset1:215
	v_add_u32_e32 v0, 0x1800, v102
	ds_read2_b64 v[4:7], v0 offset0:51 offset1:246
	v_add_u32_e32 v0, 0x2e00, v102
	v_lshl_add_u32 v105, v20, 3, 0
	ds_read2_b64 v[0:3], v0 offset0:49 offset1:205
	ds_read_b64 v[34:35], v105
	ds_read2_b64 v[12:15], v17 offset0:18 offset1:174
	v_lshl_add_u32 v104, v22, 3, 0
	ds_read_b64 v[30:31], v102 offset:14664
	ds_read_b64 v[32:33], v102
	ds_read_b64 v[28:29], v104
	v_cmp_gt_u32_e32 vcc, 39, v16
	v_lshl_add_u32 v103, v25, 3, 0
                                        ; implicit-def: $vgpr36
                                        ; implicit-def: $vgpr42
                                        ; implicit-def: $vgpr38
                                        ; implicit-def: $vgpr44
                                        ; implicit-def: $vgpr40
                                        ; implicit-def: $vgpr46
	s_and_saveexec_b64 s[2:3], vcc
	s_cbranch_execz .LBB0_15
; %bb.14:
	ds_read_b64 v[36:37], v102 offset:7800
	ds_read_b64 v[38:39], v102 offset:11856
	;; [unrolled: 1-line block ×3, first 2 shown]
	ds_read_b64 v[26:27], v103
	s_waitcnt lgkmcnt(3)
	v_mov_b32_e32 v42, v37
	s_waitcnt lgkmcnt(2)
	v_mov_b32_e32 v44, v39
	;; [unrolled: 2-line block ×3, first 2 shown]
.LBB0_15:
	s_or_b64 exec, exec, s[2:3]
	s_movk_i32 s2, 0x4ec5
	v_mul_u32_u24_sdwa v17, v20, s2 dst_sel:DWORD dst_unused:UNUSED_PAD src0_sel:WORD_0 src1_sel:DWORD
	v_lshrrev_b32_e32 v23, 18, v17
	v_mul_lo_u16_e32 v17, 13, v23
	v_sub_u16_e32 v37, v20, v17
	v_mul_u32_u24_sdwa v17, v24, s2 dst_sel:DWORD dst_unused:UNUSED_PAD src0_sel:WORD_0 src1_sel:DWORD
	v_lshrrev_b32_e32 v39, 18, v17
	v_mul_lo_u16_e32 v17, 13, v39
	v_sub_u16_e32 v41, v24, v17
	;; [unrolled: 4-line block ×3, first 2 shown]
	v_mul_u32_u24_e32 v45, 3, v21
	v_mul_u32_u24_e32 v43, 3, v41
	v_lshlrev_b32_e32 v45, 3, v45
	s_movk_i32 s2, 0x4f
	global_load_dwordx2 v[64:65], v45, s[4:5] offset:16
	global_load_dwordx4 v[48:51], v45, s[4:5]
	v_lshlrev_b32_e32 v43, 3, v43
	v_mul_lo_u16_sdwa v45, v16, s2 dst_sel:DWORD dst_unused:UNUSED_PAD src0_sel:BYTE_0 src1_sel:DWORD
	global_load_dwordx2 v[66:67], v43, s[4:5] offset:16
	global_load_dwordx4 v[52:55], v43, s[4:5]
	v_mul_u32_u24_e32 v43, 3, v37
	v_lshrrev_b16_e32 v45, 10, v45
	v_lshlrev_b32_e32 v43, 3, v43
	v_mul_lo_u16_e32 v47, 13, v45
	global_load_dwordx4 v[56:59], v43, s[4:5]
	global_load_dwordx2 v[68:69], v43, s[4:5] offset:16
	v_mov_b32_e32 v43, 3
	v_sub_u16_e32 v47, v16, v47
	v_mul_u32_u24_sdwa v60, v47, v43 dst_sel:DWORD dst_unused:UNUSED_PAD src0_sel:BYTE_0 src1_sel:DWORD
	v_lshlrev_b32_e32 v72, 3, v60
	global_load_dwordx4 v[60:63], v72, s[4:5]
	global_load_dwordx2 v[70:71], v72, s[4:5] offset:16
	v_mul_u32_u24_e32 v45, 0x1a0, v45
	v_lshlrev_b32_sdwa v43, v43, v47 dst_sel:DWORD dst_unused:UNUSED_PAD src0_sel:DWORD src1_sel:BYTE_0
	v_mul_u32_u24_e32 v23, 0x1a0, v23
	v_mul_u32_u24_e32 v39, 0x1a0, v39
	v_lshlrev_b32_e32 v37, 3, v37
	v_lshlrev_b32_e32 v41, 3, v41
	v_add3_u32 v86, 0, v45, v43
	v_add3_u32 v23, 0, v23, v37
	;; [unrolled: 1-line block ×3, first 2 shown]
	s_waitcnt lgkmcnt(0)
	s_barrier
	s_waitcnt vmcnt(7)
	v_pk_mul_f32 v[46:47], v[46:47], v[64:65] op_sel_hi:[0,1]
	s_waitcnt vmcnt(6)
	v_pk_mul_f32 v[42:43], v[42:43], v[48:49] op_sel_hi:[0,1]
	v_pk_mul_f32 v[44:45], v[44:45], v[50:51] op_sel_hi:[0,1]
	v_pk_fma_f32 v[84:85], v[36:37], v[48:49], v[42:43] op_sel:[0,0,1] op_sel_hi:[1,1,0]
	s_waitcnt vmcnt(4)
	v_pk_mul_f32 v[72:73], v[52:53], v[4:5] op_sel:[0,1]
	v_pk_fma_f32 v[36:37], v[36:37], v[48:49], v[42:43] op_sel:[0,0,1] op_sel_hi:[0,1,0] neg_lo:[1,0,0] neg_hi:[1,0,0]
	v_pk_fma_f32 v[42:43], v[38:39], v[50:51], v[44:45] op_sel:[0,0,1] op_sel_hi:[1,1,0]
	v_pk_fma_f32 v[38:39], v[38:39], v[50:51], v[44:45] op_sel:[0,0,1] op_sel_hi:[0,1,0] neg_lo:[1,0,0] neg_hi:[1,0,0]
	s_waitcnt vmcnt(3)
	v_pk_mul_f32 v[78:79], v[56:57], v[10:11] op_sel:[0,1]
	v_pk_fma_f32 v[44:45], v[40:41], v[64:65], v[46:47] op_sel:[0,0,1] op_sel_hi:[1,1,0]
	v_pk_fma_f32 v[40:41], v[40:41], v[64:65], v[46:47] op_sel:[0,0,1] op_sel_hi:[0,1,0] neg_lo:[1,0,0] neg_hi:[1,0,0]
	v_pk_fma_f32 v[46:47], v[52:53], v[4:5], v[72:73] op_sel:[0,0,1] op_sel_hi:[1,1,0]
	v_pk_fma_f32 v[4:5], v[52:53], v[4:5], v[72:73] op_sel:[0,0,1] op_sel_hi:[1,0,0] neg_lo:[1,0,0] neg_hi:[1,0,0]
	;; [unrolled: 2-line block ×3, first 2 shown]
	v_mov_b32_e32 v43, v39
	v_mov_b32_e32 v85, v37
	;; [unrolled: 1-line block ×4, first 2 shown]
	v_pk_add_f32 v[10:11], v[26:27], v[42:43] neg_lo:[0,1] neg_hi:[0,1]
	s_waitcnt vmcnt(1)
	v_pk_mul_f32 v[42:43], v[60:61], v[8:9] op_sel:[0,1]
	v_mov_b32_e32 v47, v5
	v_pk_add_f32 v[4:5], v[84:85], v[44:45] neg_lo:[0,1] neg_hi:[0,1]
	v_pk_fma_f32 v[44:45], v[60:61], v[8:9], v[42:43] op_sel:[0,0,1] op_sel_hi:[1,1,0]
	v_pk_fma_f32 v[8:9], v[60:61], v[8:9], v[42:43] op_sel:[0,0,1] op_sel_hi:[1,0,0] neg_lo:[1,0,0] neg_hi:[1,0,0]
	v_pk_mul_f32 v[74:75], v[54:55], v[14:15] op_sel:[0,1]
	v_mov_b32_e32 v45, v9
	v_pk_mul_f32 v[8:9], v[62:63], v[6:7] op_sel:[0,1]
	v_pk_mul_f32 v[76:77], v[30:31], v[66:67] op_sel:[0,1]
	v_pk_fma_f32 v[42:43], v[62:63], v[6:7], v[8:9] op_sel:[0,0,1] op_sel_hi:[1,1,0]
	v_pk_fma_f32 v[6:7], v[62:63], v[6:7], v[8:9] op_sel:[0,0,1] op_sel_hi:[1,0,0] neg_lo:[1,0,0] neg_hi:[1,0,0]
	v_pk_mul_f32 v[80:81], v[58:59], v[12:13] op_sel:[0,1]
	v_mov_b32_e32 v43, v7
	s_waitcnt vmcnt(0)
	v_pk_mul_f32 v[6:7], v[70:71], v[0:1] op_sel:[0,1]
	v_pk_fma_f32 v[48:49], v[54:55], v[14:15], v[74:75] op_sel:[0,0,1] op_sel_hi:[1,1,0]
	v_pk_fma_f32 v[14:15], v[54:55], v[14:15], v[74:75] op_sel:[0,0,1] op_sel_hi:[1,0,0] neg_lo:[1,0,0] neg_hi:[1,0,0]
	v_pk_fma_f32 v[50:51], v[30:31], v[66:67], v[76:77] op_sel:[0,0,1] op_sel_hi:[1,1,0]
	v_pk_fma_f32 v[30:31], v[30:31], v[66:67], v[76:77] op_sel:[0,0,1] op_sel_hi:[1,0,0] neg_lo:[0,0,1] neg_hi:[0,0,1]
	;; [unrolled: 2-line block ×4, first 2 shown]
	v_mov_b32_e32 v49, v15
	v_mov_b32_e32 v51, v31
	;; [unrolled: 1-line block ×3, first 2 shown]
	v_pk_mul_f32 v[82:83], v[68:69], v[2:3] op_sel:[0,1]
	v_mov_b32_e32 v55, v13
	v_pk_add_f32 v[12:13], v[28:29], v[48:49] neg_lo:[0,1] neg_hi:[0,1]
	v_pk_add_f32 v[14:15], v[46:47], v[50:51] neg_lo:[0,1] neg_hi:[0,1]
	;; [unrolled: 1-line block ×4, first 2 shown]
	v_pk_fma_f32 v[56:57], v[68:69], v[2:3], v[82:83] op_sel:[0,0,1] op_sel_hi:[1,1,0]
	v_pk_fma_f32 v[30:31], v[84:85], 2.0, v[4:5] op_sel_hi:[1,0,1] neg_lo:[0,0,1] neg_hi:[0,0,1]
	v_pk_add_f32 v[36:37], v[10:11], v[4:5] op_sel:[0,1] op_sel_hi:[1,0] neg_lo:[0,1] neg_hi:[0,1]
	v_pk_add_f32 v[4:5], v[10:11], v[4:5] op_sel:[0,1] op_sel_hi:[1,0]
	v_pk_fma_f32 v[38:39], v[28:29], 2.0, v[12:13] op_sel_hi:[1,0,1] neg_lo:[0,0,1] neg_hi:[0,0,1]
	v_pk_fma_f32 v[40:41], v[46:47], 2.0, v[14:15] op_sel_hi:[1,0,1] neg_lo:[0,0,1] neg_hi:[0,0,1]
	v_pk_fma_f32 v[2:3], v[68:69], v[2:3], v[82:83] op_sel:[0,0,1] op_sel_hi:[1,0,0] neg_lo:[1,0,0] neg_hi:[1,0,0]
	v_pk_fma_f32 v[6:7], v[32:33], 2.0, v[0:1] op_sel_hi:[1,0,1] neg_lo:[0,0,1] neg_hi:[0,0,1]
	v_pk_fma_f32 v[32:33], v[44:45], 2.0, v[8:9] op_sel_hi:[1,0,1] neg_lo:[0,0,1] neg_hi:[0,0,1]
	v_pk_add_f32 v[42:43], v[0:1], v[8:9] op_sel:[0,1] op_sel_hi:[1,0]
	v_pk_add_f32 v[8:9], v[0:1], v[8:9] op_sel:[0,1] op_sel_hi:[1,0] neg_lo:[0,1] neg_hi:[0,1]
	v_pk_fma_f32 v[26:27], v[26:27], 2.0, v[10:11] op_sel_hi:[1,0,1] neg_lo:[0,0,1] neg_hi:[0,0,1]
	v_mov_b32_e32 v5, v37
	v_pk_add_f32 v[36:37], v[38:39], v[40:41] neg_lo:[0,1] neg_hi:[0,1]
	v_mov_b32_e32 v57, v3
	v_pk_add_f32 v[32:33], v[6:7], v[32:33] neg_lo:[0,1] neg_hi:[0,1]
	;; [unrolled: 2-line block ×3, first 2 shown]
	v_pk_fma_f32 v[30:31], v[10:11], 2.0, v[4:5] op_sel_hi:[1,0,1] neg_lo:[0,0,1] neg_hi:[0,0,1]
	v_pk_fma_f32 v[10:11], v[38:39], 2.0, v[36:37] op_sel_hi:[1,0,1] neg_lo:[0,0,1] neg_hi:[0,0,1]
	v_pk_add_f32 v[2:3], v[34:35], v[54:55] neg_lo:[0,1] neg_hi:[0,1]
	v_pk_add_f32 v[38:39], v[52:53], v[56:57] neg_lo:[0,1] neg_hi:[0,1]
	v_pk_fma_f32 v[6:7], v[6:7], 2.0, v[32:33] op_sel_hi:[1,0,1] neg_lo:[0,0,1] neg_hi:[0,0,1]
	v_pk_fma_f32 v[0:1], v[0:1], 2.0, v[42:43] op_sel_hi:[1,0,1] neg_lo:[0,0,1] neg_hi:[0,0,1]
	;; [unrolled: 1-line block ×4, first 2 shown]
	ds_write2_b64 v86, v[6:7], v[0:1] offset1:13
	ds_write2_b64 v86, v[32:33], v[42:43] offset0:26 offset1:39
	v_pk_add_f32 v[0:1], v[2:3], v[38:39] op_sel:[0,1] op_sel_hi:[1,0]
	v_pk_add_f32 v[6:7], v[2:3], v[38:39] op_sel:[0,1] op_sel_hi:[1,0] neg_lo:[0,1] neg_hi:[0,1]
	v_pk_add_f32 v[40:41], v[34:35], v[40:41] neg_lo:[0,1] neg_hi:[0,1]
	v_mov_b32_e32 v1, v7
	v_pk_fma_f32 v[34:35], v[34:35], 2.0, v[40:41] op_sel_hi:[1,0,1] neg_lo:[0,0,1] neg_hi:[0,0,1]
	v_pk_fma_f32 v[2:3], v[2:3], 2.0, v[0:1] op_sel_hi:[1,0,1] neg_lo:[0,0,1] neg_hi:[0,0,1]
	ds_write2_b64 v23, v[34:35], v[2:3] offset1:13
	ds_write2_b64 v23, v[40:41], v[0:1] offset0:26 offset1:39
	v_pk_add_f32 v[0:1], v[12:13], v[14:15] op_sel:[0,1] op_sel_hi:[1,0]
	v_pk_add_f32 v[2:3], v[12:13], v[14:15] op_sel:[0,1] op_sel_hi:[1,0] neg_lo:[0,1] neg_hi:[0,1]
	v_pk_fma_f32 v[26:27], v[26:27], 2.0, v[28:29] op_sel_hi:[1,0,1] neg_lo:[0,0,1] neg_hi:[0,0,1]
	v_mov_b32_e32 v1, v3
	v_pk_fma_f32 v[2:3], v[12:13], 2.0, v[0:1] op_sel_hi:[1,0,1] neg_lo:[0,0,1] neg_hi:[0,0,1]
	ds_write2_b64 v87, v[10:11], v[2:3] offset1:13
	ds_write2_b64 v87, v[36:37], v[0:1] offset0:26 offset1:39
	s_and_saveexec_b64 s[2:3], vcc
	s_cbranch_execz .LBB0_17
; %bb.16:
	v_mul_lo_u16_e32 v0, 52, v17
	v_lshlrev_b32_e32 v1, 3, v21
	v_lshlrev_b32_e32 v0, 3, v0
	v_add3_u32 v0, 0, v1, v0
	ds_write2_b64 v0, v[26:27], v[30:31] offset1:13
	ds_write2_b64 v0, v[28:29], v[4:5] offset0:26 offset1:39
.LBB0_17:
	s_or_b64 exec, exec, s[2:3]
	v_add_u32_e32 v0, 0x1400, v102
	v_add_u32_e32 v4, 0x2800, v102
	;; [unrolled: 1-line block ×3, first 2 shown]
	s_waitcnt lgkmcnt(0)
	s_barrier
	ds_read2_b64 v[0:3], v0 offset0:36 offset1:192
	ds_read2_b64 v[4:7], v4 offset0:72 offset1:228
	ds_read_b64 v[36:37], v105
	ds_read_b64 v[34:35], v104
	ds_read2_b64 v[12:15], v8 offset0:92 offset1:248
	v_add_u32_e32 v8, 0x3400, v102
	ds_read2_b64 v[8:11], v8 offset1:156
	ds_read_b64 v[38:39], v102
	ds_read_b64 v[32:33], v103
	v_cmp_gt_u32_e32 vcc, 52, v16
	s_and_saveexec_b64 s[2:3], vcc
	s_cbranch_execz .LBB0_19
; %bb.18:
	ds_read_b64 v[26:27], v102 offset:4992
	ds_read_b64 v[30:31], v102 offset:10400
	;; [unrolled: 1-line block ×3, first 2 shown]
.LBB0_19:
	s_or_b64 exec, exec, s[2:3]
	s_movk_i32 s3, 0x4ec5
	v_mul_u32_u24_sdwa v40, v20, s3 dst_sel:DWORD dst_unused:UNUSED_PAD src0_sel:WORD_0 src1_sel:DWORD
	v_lshrrev_b32_e32 v56, 20, v40
	v_mul_lo_u16_e32 v40, 52, v56
	v_sub_u16_e32 v57, v20, v40
	v_mul_u32_u24_sdwa v40, v24, s3 dst_sel:DWORD dst_unused:UNUSED_PAD src0_sel:WORD_0 src1_sel:DWORD
	v_lshrrev_b32_e32 v58, 20, v40
	s_movk_i32 s2, 0x4f
	v_mul_lo_u16_e32 v40, 52, v58
	v_mul_lo_u16_sdwa v17, v16, s2 dst_sel:DWORD dst_unused:UNUSED_PAD src0_sel:BYTE_0 src1_sel:DWORD
	v_sub_u16_e32 v59, v24, v40
	v_mul_u32_u24_sdwa v24, v25, s3 dst_sel:DWORD dst_unused:UNUSED_PAD src0_sel:WORD_0 src1_sel:DWORD
	v_lshrrev_b16_e32 v17, 12, v17
	v_lshrrev_b32_e32 v60, 20, v24
	v_mul_lo_u16_e32 v21, 52, v17
	v_mul_lo_u16_e32 v24, 52, v60
	v_sub_u16_e32 v21, v16, v21
	v_mov_b32_e32 v23, 4
	v_sub_u16_e32 v61, v25, v24
	v_lshlrev_b32_e32 v24, 4, v61
	v_lshlrev_b32_sdwa v23, v23, v21 dst_sel:DWORD dst_unused:UNUSED_PAD src0_sel:DWORD src1_sel:BYTE_0
	global_load_dwordx4 v[40:43], v24, s[4:5] offset:312
	global_load_dwordx4 v[52:55], v23, s[4:5] offset:312
	v_lshlrev_b32_e32 v24, 4, v59
	global_load_dwordx4 v[44:47], v24, s[4:5] offset:312
	v_lshlrev_b32_e32 v24, 4, v57
	global_load_dwordx4 v[48:51], v24, s[4:5] offset:312
	s_mov_b32 s6, 0x5040100
	s_movk_i32 s2, 0x4e0
	v_perm_b32 v58, v60, v58, s6
	v_mov_b32_e32 v23, 3
	v_pk_mul_lo_u16 v58, v58, s2 op_sel_hi:[1,0]
	v_mul_u32_u24_e32 v17, 0x4e0, v17
	v_mul_u32_u24_e32 v56, 0x4e0, v56
	v_lshlrev_b32_sdwa v21, v23, v21 dst_sel:DWORD dst_unused:UNUSED_PAD src0_sel:DWORD src1_sel:BYTE_0
	v_lshlrev_b32_e32 v23, 3, v57
	v_and_b32_e32 v57, 0xffe0, v58
	v_lshlrev_b32_e32 v59, 3, v59
	v_lshrrev_b32_e32 v58, 16, v58
	v_lshlrev_b32_e32 v60, 3, v61
	v_add3_u32 v17, 0, v17, v21
	v_add3_u32 v21, 0, v56, v23
	;; [unrolled: 1-line block ×4, first 2 shown]
	s_mov_b32 s2, 0x3f5db3d7
	s_waitcnt lgkmcnt(0)
	s_barrier
	v_add_u32_e32 v24, 0x270, v16
	s_waitcnt vmcnt(3)
	v_pk_mul_f32 v[56:57], v[40:41], v[14:15] op_sel:[0,1]
	v_mov_b32_e32 v58, v43
	s_waitcnt vmcnt(2)
	v_pk_mul_f32 v[68:69], v[52:53], v[0:1] op_sel:[0,1]
	s_waitcnt vmcnt(1)
	v_pk_mul_f32 v[60:61], v[44:45], v[12:13] op_sel:[0,1]
	v_pk_mul_f32 v[62:63], v[46:47], v[8:9] op_sel:[0,1]
	s_waitcnt vmcnt(0)
	v_pk_mul_f32 v[64:65], v[48:49], v[2:3] op_sel:[0,1]
	v_pk_mul_f32 v[66:67], v[50:51], v[6:7] op_sel:[0,1]
	;; [unrolled: 1-line block ×3, first 2 shown]
	v_pk_fma_f32 v[72:73], v[40:41], v[14:15], v[56:57] op_sel:[0,0,1] op_sel_hi:[1,1,0]
	v_pk_fma_f32 v[14:15], v[40:41], v[14:15], v[56:57] op_sel:[0,0,1] op_sel_hi:[1,0,0] neg_lo:[1,0,0] neg_hi:[1,0,0]
	v_pk_mul_f32 v[40:41], v[10:11], v[58:59] op_sel_hi:[1,0]
	v_pk_fma_f32 v[56:57], v[44:45], v[12:13], v[60:61] op_sel:[0,0,1] op_sel_hi:[1,1,0]
	v_pk_fma_f32 v[12:13], v[44:45], v[12:13], v[60:61] op_sel:[0,0,1] op_sel_hi:[1,0,0] neg_lo:[1,0,0] neg_hi:[1,0,0]
	v_pk_fma_f32 v[44:45], v[46:47], v[8:9], v[62:63] op_sel:[0,0,1] op_sel_hi:[1,1,0]
	v_pk_fma_f32 v[8:9], v[46:47], v[8:9], v[62:63] op_sel:[0,0,1] op_sel_hi:[1,0,0] neg_lo:[1,0,0] neg_hi:[1,0,0]
	;; [unrolled: 2-line block ×6, first 2 shown]
	v_mov_b32_e32 v73, v15
	v_pk_fma_f32 v[14:15], v[10:11], v[42:43], v[40:41] op_sel:[0,0,1] op_sel_hi:[1,1,0]
	v_pk_fma_f32 v[10:11], v[10:11], v[42:43], v[40:41] op_sel:[0,0,1] op_sel_hi:[1,0,0] neg_lo:[0,0,1] neg_hi:[0,0,1]
	v_mov_b32_e32 v51, v1
	v_mov_b32_e32 v53, v5
	;; [unrolled: 1-line block ×4, first 2 shown]
	v_pk_add_f32 v[8:9], v[50:51], v[52:53]
	v_pk_add_f32 v[10:11], v[50:51], v[52:53] neg_lo:[0,1] neg_hi:[0,1]
	v_pk_fma_f32 v[8:9], v[8:9], 0.5, v[38:39] op_sel_hi:[1,0,1] neg_lo:[1,0,0] neg_hi:[1,0,0]
	v_pk_mul_f32 v[10:11], v[10:11], s[2:3] op_sel_hi:[1,0]
	v_mov_b32_e32 v57, v13
	v_mov_b32_e32 v49, v7
	v_pk_add_f32 v[6:7], v[38:39], v[50:51]
	v_pk_add_f32 v[12:13], v[8:9], v[10:11] op_sel:[0,1] op_sel_hi:[1,0] neg_lo:[0,1] neg_hi:[0,1]
	v_pk_add_f32 v[8:9], v[8:9], v[10:11] op_sel:[0,1] op_sel_hi:[1,0]
	v_mov_b32_e32 v47, v3
	v_pk_add_f32 v[6:7], v[6:7], v[52:53]
	v_mov_b32_e32 v10, v12
	v_mov_b32_e32 v11, v9
	v_mov_b32_e32 v9, v13
	ds_write2_b64 v17, v[6:7], v[10:11] offset1:52
	ds_write_b64 v17, v[8:9] offset:832
	v_pk_add_f32 v[6:7], v[46:47], v[48:49]
	v_pk_add_f32 v[8:9], v[46:47], v[48:49] neg_lo:[0,1] neg_hi:[0,1]
	v_pk_fma_f32 v[6:7], v[6:7], 0.5, v[36:37] op_sel_hi:[1,0,1] neg_lo:[1,0,0] neg_hi:[1,0,0]
	v_pk_mul_f32 v[8:9], v[8:9], s[2:3] op_sel_hi:[1,0]
	v_pk_add_f32 v[4:5], v[36:37], v[46:47]
	v_pk_add_f32 v[10:11], v[6:7], v[8:9] op_sel:[0,1] op_sel_hi:[1,0] neg_lo:[0,1] neg_hi:[0,1]
	v_pk_add_f32 v[6:7], v[6:7], v[8:9] op_sel:[0,1] op_sel_hi:[1,0]
	v_pk_add_f32 v[4:5], v[4:5], v[48:49]
	v_mov_b32_e32 v8, v10
	v_mov_b32_e32 v9, v7
	v_mov_b32_e32 v7, v11
	ds_write2_b64 v21, v[4:5], v[8:9] offset1:52
	ds_write_b64 v21, v[6:7] offset:832
	v_pk_add_f32 v[4:5], v[56:57], v[44:45]
	v_pk_add_f32 v[6:7], v[56:57], v[44:45] neg_lo:[0,1] neg_hi:[0,1]
	v_pk_fma_f32 v[4:5], v[4:5], 0.5, v[34:35] op_sel_hi:[1,0,1] neg_lo:[1,0,0] neg_hi:[1,0,0]
	v_pk_mul_f32 v[6:7], v[6:7], s[2:3] op_sel_hi:[1,0]
	v_pk_add_f32 v[2:3], v[34:35], v[56:57]
	v_pk_add_f32 v[8:9], v[4:5], v[6:7] op_sel:[0,1] op_sel_hi:[1,0] neg_lo:[0,1] neg_hi:[0,1]
	v_pk_add_f32 v[4:5], v[4:5], v[6:7] op_sel:[0,1] op_sel_hi:[1,0]
	;; [unrolled: 13-line block ×3, first 2 shown]
	v_pk_add_f32 v[0:1], v[0:1], v[14:15]
	v_mov_b32_e32 v4, v6
	v_mov_b32_e32 v5, v3
	;; [unrolled: 1-line block ×3, first 2 shown]
	ds_write2_b64 v59, v[0:1], v[4:5] offset1:52
	ds_write_b64 v59, v[2:3] offset:832
	s_and_saveexec_b64 s[6:7], vcc
	s_cbranch_execz .LBB0_21
; %bb.20:
	v_mul_u32_u24_sdwa v0, v24, s3 dst_sel:DWORD dst_unused:UNUSED_PAD src0_sel:WORD_0 src1_sel:DWORD
	v_lshrrev_b32_e32 v0, 20, v0
	v_mul_lo_u16_e32 v0, 52, v0
	v_sub_u16_e32 v4, v24, v0
	v_lshlrev_b32_e32 v0, 4, v4
	global_load_dwordx4 v[0:3], v0, s[4:5] offset:312
	v_lshl_add_u32 v10, v4, 3, 0
	v_add_u32_e32 v11, 0x3800, v10
	s_waitcnt vmcnt(0)
	v_pk_mul_f32 v[4:5], v[30:31], v[0:1] op_sel:[1,0]
	v_pk_mul_f32 v[6:7], v[28:29], v[2:3] op_sel:[1,0]
	v_pk_fma_f32 v[8:9], v[30:31], v[0:1], v[4:5] op_sel:[0,0,1] op_sel_hi:[1,1,0]
	v_pk_fma_f32 v[0:1], v[30:31], v[0:1], v[4:5] op_sel:[0,0,1] op_sel_hi:[0,1,0] neg_lo:[1,0,0] neg_hi:[1,0,0]
	v_pk_fma_f32 v[4:5], v[28:29], v[2:3], v[6:7] op_sel:[0,0,1] op_sel_hi:[1,1,0]
	v_pk_fma_f32 v[2:3], v[28:29], v[2:3], v[6:7] op_sel:[0,0,1] op_sel_hi:[0,1,0] neg_lo:[1,0,0] neg_hi:[1,0,0]
	v_mov_b32_e32 v9, v1
	v_mov_b32_e32 v5, v3
	v_pk_add_f32 v[0:1], v[26:27], v[8:9]
	v_pk_add_f32 v[2:3], v[8:9], v[4:5]
	v_pk_add_f32 v[6:7], v[8:9], v[4:5] neg_lo:[0,1] neg_hi:[0,1]
	v_pk_add_f32 v[0:1], v[0:1], v[4:5]
	v_pk_fma_f32 v[2:3], -0.5, v[2:3], v[26:27] op_sel_hi:[0,1,1]
	v_pk_mul_f32 v[4:5], v[6:7], s[2:3] op_sel_hi:[1,0]
	s_nop 0
	v_pk_add_f32 v[6:7], v[2:3], v[4:5] op_sel:[0,1] op_sel_hi:[1,0] neg_lo:[0,1] neg_hi:[0,1]
	v_pk_add_f32 v[2:3], v[2:3], v[4:5] op_sel:[0,1] op_sel_hi:[1,0]
	v_mov_b32_e32 v4, v6
	v_mov_b32_e32 v5, v3
	;; [unrolled: 1-line block ×3, first 2 shown]
	ds_write2_b64 v11, v[0:1], v[4:5] offset0:80 offset1:132
	ds_write_b64 v10, v[2:3] offset:15808
.LBB0_21:
	s_or_b64 exec, exec, s[6:7]
	v_add_u32_e32 v2, 0x1800, v102
	s_waitcnt lgkmcnt(0)
	s_barrier
	ds_read_b64 v[0:1], v102
	ds_read_b64 v[26:27], v105
	;; [unrolled: 1-line block ×4, first 2 shown]
	ds_read_b64 v[14:15], v102 offset:4992
	ds_read2_b32 v[28:29], v2 offset0:24 offset1:25
	v_mul_u32_u24_e32 v2, 12, v16
	v_lshlrev_b32_e32 v17, 3, v2
	global_load_dwordx4 v[2:5], v17, s[4:5] offset:1192
	global_load_dwordx4 v[6:9], v17, s[4:5] offset:1176
	;; [unrolled: 1-line block ×6, first 2 shown]
	v_add_u32_e32 v23, 0x1c00, v102
	ds_read2_b64 v[52:55], v23 offset0:40 offset1:196
	s_waitcnt lgkmcnt(2)
	v_mov_b32_e32 v30, v15
	v_add_u32_e32 v21, 0x2400, v102
	ds_read2_b64 v[56:59], v21 offset0:96 offset1:252
	v_add_u32_e32 v17, 0x3000, v102
	ds_read2_b64 v[60:63], v17 offset0:24 offset1:180
	ds_read_b64 v[68:69], v102 offset:14976
	s_mov_b32 s6, 0xbeedf032
	s_mov_b32 s2, 0x3f62ad3f
	;; [unrolled: 1-line block ×6, first 2 shown]
	s_waitcnt lgkmcnt(0)
	s_barrier
	s_mov_b32 s30, 0x3f29c268
	s_mov_b32 s26, 0x3f7e222b
	v_cmp_ne_u32_e32 vcc, 0, v16
	s_waitcnt vmcnt(3)
	v_mov_b32_e32 v32, v43
	v_mov_b32_e32 v33, v42
	v_pk_mul_f32 v[34:35], v[42:43], v[14:15] op_sel_hi:[1,0]
	s_nop 0
	v_pk_fma_f32 v[14:15], v[32:33], v[14:15], v[34:35] op_sel:[0,1,0] neg_lo:[0,0,1] neg_hi:[0,0,1]
	v_pk_fma_f32 v[30:31], v[32:33], v[30:31], v[34:35]
	v_mov_b32_e32 v14, v29
	v_mov_b32_e32 v31, v15
	v_pk_mul_f32 v[14:15], v[14:15], v[6:7] op_sel_hi:[0,1]
	v_pk_fma_f32 v[36:37], v[6:7], v[28:29], v[14:15] op_sel:[0,0,1] op_sel_hi:[1,1,0]
	v_pk_fma_f32 v[6:7], v[6:7], v[28:29], v[14:15] op_sel:[0,0,1] op_sel_hi:[1,0,0] neg_lo:[1,0,0] neg_hi:[1,0,0]
	s_nop 0
	v_mov_b32_e32 v6, v9
	v_mov_b32_e32 v37, v7
	v_pk_mul_f32 v[6:7], v[52:53], v[6:7] op_sel_hi:[1,0]
	s_nop 0
	v_pk_fma_f32 v[28:29], v[52:53], v[8:9], v[6:7] op_sel:[0,0,1] op_sel_hi:[1,1,0]
	v_pk_fma_f32 v[6:7], v[52:53], v[8:9], v[6:7] op_sel:[0,0,1] op_sel_hi:[1,0,0] neg_lo:[0,0,1] neg_hi:[0,0,1]
	s_nop 0
	v_mov_b32_e32 v29, v7
	v_pk_mul_f32 v[6:7], v[54:55], v[2:3] op_sel:[0,1]
	s_nop 0
	v_pk_fma_f32 v[34:35], v[54:55], v[2:3], v[6:7] op_sel:[0,0,1] op_sel_hi:[1,1,0]
	v_pk_fma_f32 v[2:3], v[54:55], v[2:3], v[6:7] op_sel:[0,0,1] op_sel_hi:[1,0,0] neg_lo:[0,0,1] neg_hi:[0,0,1]
	s_waitcnt vmcnt(2)
	v_pk_mul_f32 v[6:7], v[44:45], v[26:27] op_sel_hi:[1,0]
	v_mov_b32_e32 v2, v5
	v_mov_b32_e32 v35, v3
	v_pk_mul_f32 v[2:3], v[56:57], v[2:3] op_sel_hi:[1,0]
	v_pk_add_f32 v[114:115], v[28:29], v[34:35] neg_lo:[0,1] neg_hi:[0,1]
	v_pk_fma_f32 v[38:39], v[56:57], v[4:5], v[2:3] op_sel:[0,0,1] op_sel_hi:[1,1,0]
	v_pk_fma_f32 v[2:3], v[56:57], v[4:5], v[2:3] op_sel:[0,0,1] op_sel_hi:[1,0,0] neg_lo:[0,0,1] neg_hi:[0,0,1]
	v_pk_add_f32 v[112:113], v[28:29], v[34:35]
	v_mov_b32_e32 v39, v3
	s_waitcnt vmcnt(0)
	v_pk_mul_f32 v[2:3], v[58:59], v[10:11] op_sel:[0,1]
	v_pk_add_f32 v[110:111], v[36:37], v[38:39] neg_lo:[0,1] neg_hi:[0,1]
	v_pk_fma_f32 v[32:33], v[58:59], v[10:11], v[2:3] op_sel:[0,0,1] op_sel_hi:[1,1,0]
	v_pk_fma_f32 v[2:3], v[58:59], v[10:11], v[2:3] op_sel:[0,0,1] op_sel_hi:[1,0,0] neg_lo:[0,0,1] neg_hi:[0,0,1]
	v_pk_add_f32 v[108:109], v[36:37], v[38:39]
	v_mov_b32_e32 v2, v13
	v_mov_b32_e32 v33, v3
	v_pk_mul_f32 v[2:3], v[60:61], v[2:3] op_sel_hi:[1,0]
	v_pk_add_f32 v[106:107], v[30:31], v[32:33] neg_lo:[0,1] neg_hi:[0,1]
	v_pk_fma_f32 v[14:15], v[60:61], v[12:13], v[2:3] op_sel:[0,0,1] op_sel_hi:[1,1,0]
	v_pk_fma_f32 v[2:3], v[60:61], v[12:13], v[2:3] op_sel:[0,0,1] op_sel_hi:[1,0,0] neg_lo:[0,0,1] neg_hi:[0,0,1]
	v_pk_add_f32 v[100:101], v[30:31], v[32:33]
	v_mov_b32_e32 v15, v3
	v_pk_mul_f32 v[2:3], v[62:63], v[48:49] op_sel:[0,1]
	s_nop 0
	v_pk_fma_f32 v[10:11], v[62:63], v[48:49], v[2:3] op_sel:[0,0,1] op_sel_hi:[1,1,0]
	v_pk_fma_f32 v[2:3], v[62:63], v[48:49], v[2:3] op_sel:[0,0,1] op_sel_hi:[1,0,0] neg_lo:[0,0,1] neg_hi:[0,0,1]
	s_nop 0
	v_mov_b32_e32 v2, v51
	v_mov_b32_e32 v11, v3
	v_pk_mul_f32 v[2:3], v[68:69], v[2:3] op_sel_hi:[1,0]
	s_nop 0
	v_pk_fma_f32 v[4:5], v[68:69], v[50:51], v[2:3] op_sel:[0,0,1] op_sel_hi:[1,1,0]
	v_pk_fma_f32 v[2:3], v[68:69], v[50:51], v[2:3] op_sel:[0,0,1] op_sel_hi:[1,0,0] neg_lo:[0,0,1] neg_hi:[0,0,1]
	s_nop 0
	v_mov_b32_e32 v2, v27
	v_mov_b32_e32 v5, v3
	v_pk_fma_f32 v[2:3], v[44:45], v[2:3], v[6:7] op_sel:[1,0,0] op_sel_hi:[0,1,1]
	v_pk_fma_f32 v[6:7], v[44:45], v[26:27], v[6:7] op_sel:[1,1,0] op_sel_hi:[0,1,1] neg_lo:[0,0,1] neg_hi:[0,0,1]
	v_mov_b32_e32 v3, v7
	v_pk_mul_f32 v[6:7], v[46:47], v[64:65] op_sel:[0,1]
	v_pk_add_f32 v[8:9], v[2:3], v[4:5] neg_lo:[0,1] neg_hi:[0,1]
	v_pk_fma_f32 v[12:13], v[46:47], v[64:65], v[6:7] op_sel:[0,0,1] op_sel_hi:[1,1,0]
	v_pk_fma_f32 v[6:7], v[46:47], v[64:65], v[6:7] op_sel:[0,0,1] op_sel_hi:[1,0,0] neg_lo:[1,0,0] neg_hi:[1,0,0]
	s_nop 0
	v_mov_b32_e32 v13, v7
	v_pk_mul_f32 v[6:7], v[40:41], v[66:67] op_sel:[0,1]
	v_pk_add_f32 v[90:91], v[12:13], v[10:11] neg_lo:[0,1] neg_hi:[0,1]
	v_pk_fma_f32 v[26:27], v[40:41], v[66:67], v[6:7] op_sel:[0,0,1] op_sel_hi:[1,1,0]
	v_pk_fma_f32 v[6:7], v[40:41], v[66:67], v[6:7] op_sel:[0,0,1] op_sel_hi:[1,0,0] neg_lo:[1,0,0] neg_hi:[1,0,0]
	v_pk_add_f32 v[88:89], v[12:13], v[10:11]
	v_mov_b32_e32 v27, v7
	v_pk_add_f32 v[6:7], v[2:3], v[0:1]
	v_pk_add_f32 v[94:95], v[26:27], v[14:15] neg_lo:[0,1] neg_hi:[0,1]
	v_pk_add_f32 v[6:7], v[6:7], v[12:13]
	v_pk_mul_f32 v[12:13], v[90:91], s[14:15] op_sel_hi:[1,0]
	v_pk_add_f32 v[6:7], v[6:7], v[26:27]
	v_pk_add_f32 v[92:93], v[26:27], v[14:15]
	;; [unrolled: 1-line block ×3, first 2 shown]
	v_pk_mul_f32 v[26:27], v[94:95], s[20:21] op_sel_hi:[1,0]
	v_pk_add_f32 v[6:7], v[6:7], v[36:37]
	v_pk_mul_f32 v[46:47], v[90:91], s[12:13] op_sel_hi:[1,0]
	v_pk_add_f32 v[6:7], v[6:7], v[28:29]
	;; [unrolled: 2-line block ×6, first 2 shown]
	v_pk_fma_f32 v[14:15], v[92:93], s[8:9], v[26:27] op_sel:[0,0,1] op_sel_hi:[1,0,0]
	v_pk_add_f32 v[6:7], v[6:7], v[10:11]
	v_pk_fma_f32 v[26:27], v[92:93], s[8:9], v[26:27] op_sel:[0,0,1] op_sel_hi:[1,0,0] neg_lo:[0,0,1] neg_hi:[0,0,1]
	v_pk_add_f32 v[40:41], v[6:7], v[4:5]
	v_pk_add_f32 v[6:7], v[2:3], v[4:5]
	v_pk_mul_f32 v[4:5], v[8:9], s[6:7] op_sel_hi:[1,0]
	s_mov_b32 s6, 0x3f116cb1
	v_pk_fma_f32 v[2:3], v[6:7], s[2:3], v[4:5] op_sel:[0,0,1] op_sel_hi:[1,0,0]
	v_pk_fma_f32 v[4:5], v[6:7], s[2:3], v[4:5] op_sel:[0,0,1] op_sel_hi:[1,0,0] neg_lo:[0,0,1] neg_hi:[0,0,1]
	v_mov_b32_e32 v42, v2
	v_mov_b32_e32 v43, v5
	v_pk_fma_f32 v[10:11], v[88:89], s[6:7], v[12:13] op_sel:[0,0,1] op_sel_hi:[1,0,0]
	v_pk_fma_f32 v[12:13], v[88:89], s[6:7], v[12:13] op_sel:[0,0,1] op_sel_hi:[1,0,0] neg_lo:[0,0,1] neg_hi:[0,0,1]
	v_pk_add_f32 v[42:43], v[42:43], v[0:1]
	v_mov_b32_e32 v44, v10
	v_mov_b32_e32 v45, v13
	v_pk_add_f32 v[42:43], v[44:45], v[42:43]
	v_mov_b32_e32 v44, v14
	v_mov_b32_e32 v45, v27
	v_pk_fma_f32 v[30:31], v[100:101], s[10:11], v[32:33] op_sel:[0,0,1] op_sel_hi:[1,0,0]
	v_pk_fma_f32 v[32:33], v[100:101], s[10:11], v[32:33] op_sel:[0,0,1] op_sel_hi:[1,0,0] neg_lo:[0,0,1] neg_hi:[0,0,1]
	v_pk_add_f32 v[42:43], v[44:45], v[42:43]
	v_mov_b32_e32 v44, v30
	v_mov_b32_e32 v45, v33
	v_pk_fma_f32 v[36:37], v[108:109], s[16:17], v[38:39] op_sel:[0,0,1] op_sel_hi:[1,0,0]
	v_pk_fma_f32 v[38:39], v[108:109], s[16:17], v[38:39] op_sel:[0,0,1] op_sel_hi:[1,0,0] neg_lo:[0,0,1] neg_hi:[0,0,1]
	;; [unrolled: 5-line block ×3, first 2 shown]
	v_pk_add_f32 v[42:43], v[44:45], v[42:43]
	v_mov_b32_e32 v44, v28
	v_mov_b32_e32 v45, v35
	v_pk_add_f32 v[42:43], v[44:45], v[42:43]
	ds_write2_b64 v102, v[40:41], v[42:43] offset1:156
	v_pk_mul_f32 v[42:43], v[8:9], s[14:15] op_sel_hi:[1,0]
	v_add_u32_e32 v2, 0x800, v102
	v_pk_fma_f32 v[40:41], v[6:7], s[6:7], v[42:43] op_sel:[0,0,1] op_sel_hi:[1,0,0]
	v_pk_fma_f32 v[42:43], v[6:7], s[6:7], v[42:43] op_sel:[0,0,1] op_sel_hi:[1,0,0] neg_lo:[0,0,1] neg_hi:[0,0,1]
	v_mov_b32_e32 v44, v40
	v_mov_b32_e32 v45, v43
	v_pk_add_f32 v[48:49], v[44:45], v[0:1]
	v_pk_fma_f32 v[44:45], v[88:89], s[10:11], v[46:47] op_sel:[0,0,1] op_sel_hi:[1,0,0]
	v_pk_fma_f32 v[46:47], v[88:89], s[10:11], v[46:47] op_sel:[0,0,1] op_sel_hi:[1,0,0] neg_lo:[0,0,1] neg_hi:[0,0,1]
	v_mov_b32_e32 v50, v44
	v_mov_b32_e32 v51, v47
	v_pk_add_f32 v[52:53], v[50:51], v[48:49]
	v_pk_mul_f32 v[50:51], v[94:95], s[24:25] op_sel_hi:[1,0]
	v_pk_mul_f32 v[118:119], v[90:91], s[30:31] op_sel_hi:[1,0]
	v_pk_fma_f32 v[48:49], v[92:93], s[22:23], v[50:51] op_sel:[0,0,1] op_sel_hi:[1,0,0]
	v_pk_fma_f32 v[50:51], v[92:93], s[22:23], v[50:51] op_sel:[0,0,1] op_sel_hi:[1,0,0] neg_lo:[0,0,1] neg_hi:[0,0,1]
	v_mov_b32_e32 v54, v48
	v_mov_b32_e32 v55, v51
	v_pk_add_f32 v[56:57], v[54:55], v[52:53]
	v_pk_mul_f32 v[54:55], v[106:107], s[30:31] op_sel_hi:[1,0]
	v_pk_fma_f32 v[120:121], v[88:89], s[16:17], v[118:119] op_sel:[0,0,1] op_sel_hi:[1,0,0]
	v_pk_fma_f32 v[52:53], v[100:101], s[16:17], v[54:55] op_sel:[0,0,1] op_sel_hi:[1,0,0]
	v_pk_fma_f32 v[54:55], v[100:101], s[16:17], v[54:55] op_sel:[0,0,1] op_sel_hi:[1,0,0] neg_lo:[0,0,1] neg_hi:[0,0,1]
	v_mov_b32_e32 v58, v52
	v_mov_b32_e32 v59, v55
	v_pk_add_f32 v[60:61], v[58:59], v[56:57]
	v_pk_mul_f32 v[58:59], v[110:111], s[26:27] op_sel_hi:[1,0]
	v_pk_fma_f32 v[118:119], v[88:89], s[16:17], v[118:119] op_sel:[0,0,1] op_sel_hi:[1,0,0] neg_lo:[0,0,1] neg_hi:[0,0,1]
	v_pk_fma_f32 v[56:57], v[108:109], s[8:9], v[58:59] op_sel:[0,0,1] op_sel_hi:[1,0,0]
	v_pk_fma_f32 v[58:59], v[108:109], s[8:9], v[58:59] op_sel:[0,0,1] op_sel_hi:[1,0,0] neg_lo:[0,0,1] neg_hi:[0,0,1]
	v_mov_b32_e32 v62, v56
	v_mov_b32_e32 v63, v59
	v_pk_add_f32 v[64:65], v[62:63], v[60:61]
	v_pk_mul_f32 v[62:63], v[114:115], s[28:29] op_sel_hi:[1,0]
	v_mov_b32_e32 v122, v120
	v_pk_fma_f32 v[60:61], v[112:113], s[2:3], v[62:63] op_sel:[0,0,1] op_sel_hi:[1,0,0]
	v_pk_fma_f32 v[62:63], v[112:113], s[2:3], v[62:63] op_sel:[0,0,1] op_sel_hi:[1,0,0] neg_lo:[0,0,1] neg_hi:[0,0,1]
	v_mov_b32_e32 v66, v60
	v_mov_b32_e32 v67, v63
	v_pk_add_f32 v[96:97], v[66:67], v[64:65]
	v_pk_mul_f32 v[66:67], v[8:9], s[20:21] op_sel_hi:[1,0]
	v_mov_b32_e32 v123, v119
	v_pk_fma_f32 v[64:65], v[6:7], s[8:9], v[66:67] op_sel:[0,0,1] op_sel_hi:[1,0,0]
	v_pk_fma_f32 v[66:67], v[6:7], s[8:9], v[66:67] op_sel:[0,0,1] op_sel_hi:[1,0,0] neg_lo:[0,0,1] neg_hi:[0,0,1]
	v_mov_b32_e32 v68, v64
	v_mov_b32_e32 v69, v67
	v_pk_add_f32 v[72:73], v[68:69], v[0:1]
	v_pk_fma_f32 v[68:69], v[88:89], s[22:23], v[70:71] op_sel:[0,0,1] op_sel_hi:[1,0,0]
	v_pk_fma_f32 v[70:71], v[88:89], s[22:23], v[70:71] op_sel:[0,0,1] op_sel_hi:[1,0,0] neg_lo:[0,0,1] neg_hi:[0,0,1]
	v_mov_b32_e32 v74, v68
	v_mov_b32_e32 v75, v71
	v_pk_add_f32 v[76:77], v[74:75], v[72:73]
	v_pk_mul_f32 v[74:75], v[94:95], s[34:35] op_sel_hi:[1,0]
	s_mov_b32 s30, 0x3f52af12
	v_pk_fma_f32 v[72:73], v[92:93], s[10:11], v[74:75] op_sel:[0,0,1] op_sel_hi:[1,0,0]
	v_pk_fma_f32 v[74:75], v[92:93], s[10:11], v[74:75] op_sel:[0,0,1] op_sel_hi:[1,0,0] neg_lo:[0,0,1] neg_hi:[0,0,1]
	v_mov_b32_e32 v78, v72
	v_mov_b32_e32 v79, v75
	v_pk_add_f32 v[80:81], v[78:79], v[76:77]
	v_pk_mul_f32 v[78:79], v[106:107], s[28:29] op_sel_hi:[1,0]
	v_pk_mul_f32 v[144:145], v[90:91], s[26:27] op_sel_hi:[1,0]
	v_pk_fma_f32 v[76:77], v[100:101], s[2:3], v[78:79] op_sel:[0,0,1] op_sel_hi:[1,0,0]
	v_pk_fma_f32 v[78:79], v[100:101], s[2:3], v[78:79] op_sel:[0,0,1] op_sel_hi:[1,0,0] neg_lo:[0,0,1] neg_hi:[0,0,1]
	v_mov_b32_e32 v82, v76
	v_mov_b32_e32 v83, v79
	v_pk_add_f32 v[84:85], v[82:83], v[80:81]
	v_pk_mul_f32 v[82:83], v[110:111], s[14:15] op_sel_hi:[1,0]
	v_pk_fma_f32 v[146:147], v[88:89], s[8:9], v[144:145] op_sel:[0,0,1] op_sel_hi:[1,0,0]
	v_pk_fma_f32 v[80:81], v[108:109], s[6:7], v[82:83] op_sel:[0,0,1] op_sel_hi:[1,0,0]
	v_pk_fma_f32 v[82:83], v[108:109], s[6:7], v[82:83] op_sel:[0,0,1] op_sel_hi:[1,0,0] neg_lo:[0,0,1] neg_hi:[0,0,1]
	v_mov_b32_e32 v86, v80
	v_mov_b32_e32 v87, v83
	v_pk_add_f32 v[98:99], v[86:87], v[84:85]
	v_pk_mul_f32 v[86:87], v[114:115], s[18:19] op_sel_hi:[1,0]
	v_pk_fma_f32 v[144:145], v[88:89], s[8:9], v[144:145] op_sel:[0,0,1] op_sel_hi:[1,0,0] neg_lo:[0,0,1] neg_hi:[0,0,1]
	v_pk_fma_f32 v[84:85], v[112:113], s[16:17], v[86:87] op_sel:[0,0,1] op_sel_hi:[1,0,0]
	v_pk_fma_f32 v[86:87], v[112:113], s[16:17], v[86:87] op_sel:[0,0,1] op_sel_hi:[1,0,0] neg_lo:[0,0,1] neg_hi:[0,0,1]
	v_mov_b32_e32 v116, v84
	v_mov_b32_e32 v117, v87
	v_pk_add_f32 v[98:99], v[116:117], v[98:99]
	ds_write2_b64 v2, v[96:97], v[98:99] offset0:56 offset1:212
	v_pk_mul_f32 v[98:99], v[8:9], s[12:13] op_sel_hi:[1,0]
	v_mov_b32_e32 v148, v146
	v_pk_fma_f32 v[96:97], v[6:7], s[10:11], v[98:99] op_sel:[0,0,1] op_sel_hi:[1,0,0]
	v_pk_fma_f32 v[98:99], v[6:7], s[10:11], v[98:99] op_sel:[0,0,1] op_sel_hi:[1,0,0] neg_lo:[0,0,1] neg_hi:[0,0,1]
	v_mov_b32_e32 v116, v96
	v_mov_b32_e32 v117, v99
	v_pk_add_f32 v[116:117], v[116:117], v[0:1]
	v_mov_b32_e32 v149, v145
	v_pk_add_f32 v[116:117], v[122:123], v[116:117]
	v_pk_mul_f32 v[122:123], v[94:95], s[28:29] op_sel_hi:[1,0]
	v_add_u32_e32 v2, 0x1200, v102
	v_pk_fma_f32 v[124:125], v[92:93], s[2:3], v[122:123] op_sel:[0,0,1] op_sel_hi:[1,0,0]
	v_pk_fma_f32 v[122:123], v[92:93], s[2:3], v[122:123] op_sel:[0,0,1] op_sel_hi:[1,0,0] neg_lo:[0,0,1] neg_hi:[0,0,1]
	v_mov_b32_e32 v126, v124
	v_mov_b32_e32 v127, v123
	v_pk_add_f32 v[116:117], v[126:127], v[116:117]
	v_pk_mul_f32 v[126:127], v[106:107], s[20:21] op_sel_hi:[1,0]
	s_mov_b32 s20, 0x3e750f2a
	v_pk_fma_f32 v[128:129], v[100:101], s[8:9], v[126:127] op_sel:[0,0,1] op_sel_hi:[1,0,0]
	v_pk_fma_f32 v[126:127], v[100:101], s[8:9], v[126:127] op_sel:[0,0,1] op_sel_hi:[1,0,0] neg_lo:[0,0,1] neg_hi:[0,0,1]
	v_mov_b32_e32 v130, v128
	v_mov_b32_e32 v131, v127
	v_pk_add_f32 v[116:117], v[130:131], v[116:117]
	v_pk_mul_f32 v[130:131], v[110:111], s[20:21] op_sel_hi:[1,0]
	v_pk_mul_f32 v[90:91], v[90:91], s[28:29] op_sel_hi:[1,0]
	v_pk_fma_f32 v[132:133], v[108:109], s[22:23], v[130:131] op_sel:[0,0,1] op_sel_hi:[1,0,0]
	v_pk_fma_f32 v[130:131], v[108:109], s[22:23], v[130:131] op_sel:[0,0,1] op_sel_hi:[1,0,0] neg_lo:[0,0,1] neg_hi:[0,0,1]
	v_mov_b32_e32 v134, v132
	v_mov_b32_e32 v135, v131
	v_pk_add_f32 v[116:117], v[134:135], v[116:117]
	v_pk_mul_f32 v[134:135], v[114:115], s[30:31] op_sel_hi:[1,0]
	v_mov_b32_e32 v99, v97
	v_pk_fma_f32 v[136:137], v[112:113], s[6:7], v[134:135] op_sel:[0,0,1] op_sel_hi:[1,0,0]
	v_pk_fma_f32 v[134:135], v[112:113], s[6:7], v[134:135] op_sel:[0,0,1] op_sel_hi:[1,0,0] neg_lo:[0,0,1] neg_hi:[0,0,1]
	v_mov_b32_e32 v138, v136
	v_mov_b32_e32 v139, v135
	v_pk_add_f32 v[116:117], v[138:139], v[116:117]
	v_pk_mul_f32 v[138:139], v[8:9], s[18:19] op_sel_hi:[1,0]
	v_pk_mul_f32 v[8:9], v[8:9], s[24:25] op_sel_hi:[1,0]
	v_pk_fma_f32 v[140:141], v[6:7], s[16:17], v[138:139] op_sel:[0,0,1] op_sel_hi:[1,0,0]
	v_pk_fma_f32 v[138:139], v[6:7], s[16:17], v[138:139] op_sel:[0,0,1] op_sel_hi:[1,0,0] neg_lo:[0,0,1] neg_hi:[0,0,1]
	v_mov_b32_e32 v142, v140
	v_mov_b32_e32 v143, v139
	v_pk_add_f32 v[142:143], v[142:143], v[0:1]
	v_mov_b32_e32 v139, v141
	v_pk_add_f32 v[142:143], v[148:149], v[142:143]
	v_pk_mul_f32 v[148:149], v[94:95], s[14:15] op_sel_hi:[1,0]
	v_mov_b32_e32 v145, v147
	v_pk_fma_f32 v[150:151], v[92:93], s[6:7], v[148:149] op_sel:[0,0,1] op_sel_hi:[1,0,0]
	v_pk_fma_f32 v[148:149], v[92:93], s[6:7], v[148:149] op_sel:[0,0,1] op_sel_hi:[1,0,0] neg_lo:[0,0,1] neg_hi:[0,0,1]
	v_mov_b32_e32 v152, v150
	v_mov_b32_e32 v153, v149
	v_pk_add_f32 v[142:143], v[152:153], v[142:143]
	v_pk_mul_f32 v[152:153], v[106:107], s[20:21] op_sel_hi:[1,0]
	v_mov_b32_e32 v119, v121
	v_pk_fma_f32 v[154:155], v[100:101], s[22:23], v[152:153] op_sel:[0,0,1] op_sel_hi:[1,0,0]
	v_pk_fma_f32 v[152:153], v[100:101], s[22:23], v[152:153] op_sel:[0,0,1] op_sel_hi:[1,0,0] neg_lo:[0,0,1] neg_hi:[0,0,1]
	v_mov_b32_e32 v156, v154
	;; [unrolled: 7-line block ×4, first 2 shown]
	v_mov_b32_e32 v165, v161
	v_pk_add_f32 v[142:143], v[164:165], v[142:143]
	ds_write2_b64 v2, v[116:117], v[142:143] offset0:48 offset1:204
	v_pk_fma_f32 v[116:117], v[6:7], s[22:23], v[8:9] op_sel:[0,0,1] op_sel_hi:[1,0,0]
	v_pk_fma_f32 v[6:7], v[6:7], s[22:23], v[8:9] op_sel:[0,0,1] op_sel_hi:[1,0,0] neg_lo:[0,0,1] neg_hi:[0,0,1]
	v_mov_b32_e32 v8, v116
	v_mov_b32_e32 v9, v7
	v_pk_fma_f32 v[142:143], v[88:89], s[2:3], v[90:91] op_sel:[0,0,1] op_sel_hi:[1,0,0]
	v_pk_fma_f32 v[88:89], v[88:89], s[2:3], v[90:91] op_sel:[0,0,1] op_sel_hi:[1,0,0] neg_lo:[0,0,1] neg_hi:[0,0,1]
	v_pk_add_f32 v[8:9], v[8:9], v[0:1]
	v_mov_b32_e32 v90, v142
	v_mov_b32_e32 v91, v89
	v_pk_add_f32 v[8:9], v[90:91], v[8:9]
	v_pk_mul_f32 v[90:91], v[94:95], s[18:19] op_sel_hi:[1,0]
	v_mov_b32_e32 v7, v117
	v_pk_fma_f32 v[94:95], v[92:93], s[16:17], v[90:91] op_sel:[0,0,1] op_sel_hi:[1,0,0]
	v_pk_fma_f32 v[90:91], v[92:93], s[16:17], v[90:91] op_sel:[0,0,1] op_sel_hi:[1,0,0] neg_lo:[0,0,1] neg_hi:[0,0,1]
	v_mov_b32_e32 v92, v94
	v_mov_b32_e32 v93, v91
	v_pk_add_f32 v[8:9], v[92:93], v[8:9]
	v_pk_mul_f32 v[92:93], v[106:107], s[30:31] op_sel_hi:[1,0]
	v_pk_add_f32 v[6:7], v[6:7], v[0:1]
	v_pk_fma_f32 v[106:107], v[100:101], s[6:7], v[92:93] op_sel:[0,0,1] op_sel_hi:[1,0,0]
	v_pk_fma_f32 v[92:93], v[100:101], s[6:7], v[92:93] op_sel:[0,0,1] op_sel_hi:[1,0,0] neg_lo:[0,0,1] neg_hi:[0,0,1]
	v_mov_b32_e32 v100, v106
	v_mov_b32_e32 v101, v93
	v_pk_add_f32 v[8:9], v[100:101], v[8:9]
	v_pk_mul_f32 v[100:101], v[110:111], s[12:13] op_sel_hi:[1,0]
	v_mov_b32_e32 v89, v143
	v_pk_fma_f32 v[110:111], v[108:109], s[10:11], v[100:101] op_sel:[0,0,1] op_sel_hi:[1,0,0]
	v_pk_fma_f32 v[100:101], v[108:109], s[10:11], v[100:101] op_sel:[0,0,1] op_sel_hi:[1,0,0] neg_lo:[0,0,1] neg_hi:[0,0,1]
	v_mov_b32_e32 v108, v110
	v_mov_b32_e32 v109, v101
	v_pk_add_f32 v[6:7], v[88:89], v[6:7]
	v_mov_b32_e32 v91, v95
	v_pk_add_f32 v[8:9], v[108:109], v[8:9]
	v_pk_mul_f32 v[108:109], v[114:115], s[26:27] op_sel_hi:[1,0]
	v_pk_add_f32 v[6:7], v[90:91], v[6:7]
	v_mov_b32_e32 v93, v107
	v_pk_fma_f32 v[114:115], v[112:113], s[8:9], v[108:109] op_sel:[0,0,1] op_sel_hi:[1,0,0]
	v_pk_fma_f32 v[108:109], v[112:113], s[8:9], v[108:109] op_sel:[0,0,1] op_sel_hi:[1,0,0] neg_lo:[0,0,1] neg_hi:[0,0,1]
	v_pk_add_f32 v[6:7], v[92:93], v[6:7]
	v_mov_b32_e32 v101, v111
	v_mov_b32_e32 v112, v114
	;; [unrolled: 1-line block ×3, first 2 shown]
	v_pk_add_f32 v[6:7], v[100:101], v[6:7]
	v_mov_b32_e32 v109, v115
	v_pk_add_f32 v[8:9], v[112:113], v[8:9]
	v_pk_add_f32 v[6:7], v[108:109], v[6:7]
	ds_write2_b64 v23, v[8:9], v[6:7] offset0:40 offset1:196
	v_pk_add_f32 v[6:7], v[138:139], v[0:1]
	v_pk_add_f32 v[8:9], v[98:99], v[0:1]
	;; [unrolled: 1-line block ×5, first 2 shown]
	v_mov_b32_e32 v153, v155
	v_pk_add_f32 v[8:9], v[122:123], v[8:9]
	v_mov_b32_e32 v127, v129
	v_pk_add_f32 v[6:7], v[152:153], v[6:7]
	;; [unrolled: 2-line block ×6, first 2 shown]
	v_pk_add_f32 v[8:9], v[134:135], v[8:9]
	v_mov_b32_e32 v67, v65
	v_mov_b32_e32 v43, v41
	;; [unrolled: 1-line block ×3, first 2 shown]
	ds_write2_b64 v21, v[6:7], v[8:9] offset0:96 offset1:252
	v_pk_add_f32 v[6:7], v[66:67], v[0:1]
	v_mov_b32_e32 v71, v69
	v_pk_add_f32 v[8:9], v[42:43], v[0:1]
	v_mov_b32_e32 v47, v45
	;; [unrolled: 2-line block ×15, first 2 shown]
	v_pk_add_f32 v[6:7], v[86:87], v[6:7]
	v_pk_add_f32 v[8:9], v[62:63], v[8:9]
	v_pk_add_f32 v[0:1], v[34:35], v[0:1]
	ds_write2_b64 v17, v[6:7], v[8:9] offset0:24 offset1:180
	ds_write_b64 v102, v[0:1] offset:14976
	s_waitcnt lgkmcnt(0)
	s_barrier
	ds_read_b64 v[4:5], v102
	s_add_u32 s2, s4, 0x3ef8
	v_lshlrev_b32_e32 v0, 3, v16
	s_addc_u32 s3, s5, 0
	v_sub_u32_e32 v6, 0, v0
                                        ; implicit-def: $vgpr2_vgpr3
                                        ; implicit-def: $vgpr1
	s_and_saveexec_b64 s[4:5], vcc
	s_xor_b64 s[4:5], exec, s[4:5]
	s_cbranch_execz .LBB0_23
; %bb.22:
	v_mov_b32_e32 v17, 0
	v_lshl_add_u64 v[0:1], v[16:17], 3, s[2:3]
	global_load_dwordx2 v[2:3], v[0:1], off
	ds_read_b64 v[0:1], v6 offset:16224
	v_mov_b32_e32 v9, 0.5
	v_mov_b32_e32 v10, v9
	s_waitcnt lgkmcnt(0)
	v_pk_add_f32 v[12:13], v[0:1], v[4:5]
	v_pk_add_f32 v[0:1], v[4:5], v[0:1] neg_lo:[0,1] neg_hi:[0,1]
	v_mov_b32_e32 v4, v13
	v_mov_b32_e32 v5, v0
	v_pk_mul_f32 v[4:5], v[4:5], 0.5 op_sel_hi:[1,0]
	s_waitcnt vmcnt(0)
	v_mov_b32_e32 v8, v3
	v_mov_b32_e32 v0, v5
	;; [unrolled: 1-line block ×4, first 2 shown]
	v_pk_mul_f32 v[0:1], v[8:9], v[0:1]
	v_pk_mul_f32 v[14:15], v[2:3], v[4:5] op_sel_hi:[0,1]
	v_pk_fma_f32 v[8:9], v[12:13], v[10:11], v[0:1]
	v_pk_fma_f32 v[10:11], v[12:13], v[10:11], v[0:1] neg_lo:[0,0,1] neg_hi:[0,0,1]
	v_add_f32_e32 v0, v14, v8
	v_sub_f32_e32 v1, v9, v15
	ds_write_b32 v102, v0
	v_pk_fma_f32 v[2:3], v[2:3], v[4:5], v[10:11] op_sel_hi:[0,1,1] neg_lo:[1,0,0] neg_hi:[1,0,0]
                                        ; implicit-def: $vgpr4_vgpr5
.LBB0_23:
	s_andn2_saveexec_b64 s[4:5], s[4:5]
	s_cbranch_execz .LBB0_25
; %bb.24:
	s_waitcnt lgkmcnt(0)
	v_mov_b32_e32 v0, v5
	v_pk_add_f32 v[0:1], v[4:5], v[0:1] neg_lo:[0,1] neg_hi:[0,1]
	v_add_f32_e32 v3, v5, v4
	v_mov_b32_e32 v1, 0
	ds_read_b32 v2, v1 offset:8116
	ds_write_b32 v102, v3
	s_waitcnt lgkmcnt(1)
	v_xor_b32_e32 v2, 0x80000000, v2
	ds_write_b32 v1, v2 offset:8116
	v_mov_b64_e32 v[2:3], v[0:1]
.LBB0_25:
	s_or_b64 exec, exec, s[4:5]
	v_mov_b32_e32 v21, 0
	s_waitcnt lgkmcnt(0)
	v_lshl_add_u64 v[4:5], v[20:21], 3, s[2:3]
	global_load_dwordx2 v[4:5], v[4:5], off
	v_mov_b32_e32 v23, v21
	v_lshl_add_u64 v[8:9], v[22:23], 3, s[2:3]
	global_load_dwordx2 v[8:9], v[8:9], off
	v_mov_b32_e32 v20, v25
	;; [unrolled: 3-line block ×3, first 2 shown]
	v_lshl_add_u64 v[12:13], v[24:25], 3, s[2:3]
	global_load_dwordx2 v[12:13], v[12:13], off
	v_add_u32_e32 v20, 0x30c, v16
	ds_write_b32 v102, v1 offset:4
	ds_write_b64 v6, v[2:3] offset:16224
	v_lshl_add_u64 v[24:25], v[20:21], 3, s[2:3]
	ds_read_b64 v[2:3], v105
	ds_read_b64 v[14:15], v6 offset:14976
	global_load_dwordx2 v[24:25], v[24:25], off
	v_mov_b32_e32 v1, 0.5
	v_mov_b32_e32 v22, v1
	s_movk_i32 s4, 0x4e
	s_waitcnt lgkmcnt(0)
	v_pk_add_f32 v[26:27], v[2:3], v[14:15]
	v_pk_add_f32 v[2:3], v[2:3], v[14:15] neg_lo:[0,1] neg_hi:[0,1]
	v_mov_b32_e32 v14, v27
	v_mov_b32_e32 v15, v2
	v_pk_mul_f32 v[14:15], v[14:15], 0.5 op_sel_hi:[1,0]
	v_cmp_gt_u32_e32 vcc, s4, v16
	v_mov_b32_e32 v2, v15
	v_mov_b32_e32 v27, v14
	s_waitcnt vmcnt(4)
	v_mov_b32_e32 v0, v5
	v_mov_b32_e32 v23, v5
	v_pk_mul_f32 v[2:3], v[0:1], v[2:3]
	s_waitcnt vmcnt(3)
	v_mov_b32_e32 v0, v9
	v_pk_fma_f32 v[28:29], v[26:27], v[22:23], v[2:3]
	v_pk_fma_f32 v[2:3], v[26:27], v[22:23], v[2:3] neg_lo:[0,0,1] neg_hi:[0,0,1]
	v_pk_fma_f32 v[22:23], v[4:5], v[14:15], v[28:29]
	v_pk_fma_f32 v[26:27], v[4:5], v[14:15], v[28:29] op_sel_hi:[0,1,1] neg_lo:[1,0,0] neg_hi:[1,0,0]
	v_mov_b32_e32 v23, v27
	v_pk_fma_f32 v[2:3], v[4:5], v[14:15], v[2:3] op_sel_hi:[0,1,1] neg_lo:[1,0,0] neg_hi:[1,0,0]
	ds_write_b64 v105, v[22:23]
	ds_write_b64 v6, v[2:3] offset:14976
	ds_read_b64 v[2:3], v104
	ds_read_b64 v[4:5], v6 offset:13728
	v_mov_b32_e32 v14, v1
	v_mov_b32_e32 v15, v9
	s_waitcnt lgkmcnt(0)
	v_pk_add_f32 v[22:23], v[2:3], v[4:5]
	v_pk_add_f32 v[2:3], v[2:3], v[4:5] neg_lo:[0,1] neg_hi:[0,1]
	v_mov_b32_e32 v4, v23
	v_mov_b32_e32 v5, v2
	v_pk_mul_f32 v[4:5], v[4:5], 0.5 op_sel_hi:[1,0]
	s_nop 0
	v_mov_b32_e32 v2, v5
	v_mov_b32_e32 v23, v4
	v_pk_mul_f32 v[2:3], v[0:1], v[2:3]
	s_waitcnt vmcnt(2)
	v_mov_b32_e32 v0, v11
	v_pk_fma_f32 v[26:27], v[22:23], v[14:15], v[2:3]
	v_pk_fma_f32 v[2:3], v[22:23], v[14:15], v[2:3] neg_lo:[0,0,1] neg_hi:[0,0,1]
	v_pk_fma_f32 v[14:15], v[8:9], v[4:5], v[26:27]
	v_pk_fma_f32 v[22:23], v[8:9], v[4:5], v[26:27] op_sel_hi:[0,1,1] neg_lo:[1,0,0] neg_hi:[1,0,0]
	v_mov_b32_e32 v15, v23
	v_pk_fma_f32 v[2:3], v[8:9], v[4:5], v[2:3] op_sel_hi:[0,1,1] neg_lo:[1,0,0] neg_hi:[1,0,0]
	ds_write_b64 v104, v[14:15]
	ds_write_b64 v6, v[2:3] offset:13728
	ds_read_b64 v[2:3], v103
	ds_read_b64 v[4:5], v6 offset:12480
	v_mov_b32_e32 v8, v1
	v_mov_b32_e32 v9, v11
	s_waitcnt lgkmcnt(0)
	v_pk_add_f32 v[14:15], v[2:3], v[4:5]
	v_pk_add_f32 v[2:3], v[2:3], v[4:5] neg_lo:[0,1] neg_hi:[0,1]
	v_mov_b32_e32 v4, v15
	v_mov_b32_e32 v5, v2
	v_pk_mul_f32 v[4:5], v[4:5], 0.5 op_sel_hi:[1,0]
	s_nop 0
	v_mov_b32_e32 v2, v5
	v_mov_b32_e32 v15, v4
	v_pk_mul_f32 v[2:3], v[0:1], v[2:3]
	s_waitcnt vmcnt(1)
	v_mov_b32_e32 v0, v13
	v_pk_fma_f32 v[22:23], v[14:15], v[8:9], v[2:3]
	v_pk_fma_f32 v[2:3], v[14:15], v[8:9], v[2:3] neg_lo:[0,0,1] neg_hi:[0,0,1]
	v_pk_fma_f32 v[8:9], v[10:11], v[4:5], v[22:23]
	v_pk_fma_f32 v[14:15], v[10:11], v[4:5], v[22:23] op_sel_hi:[0,1,1] neg_lo:[1,0,0] neg_hi:[1,0,0]
	v_mov_b32_e32 v9, v15
	v_pk_fma_f32 v[2:3], v[10:11], v[4:5], v[2:3] op_sel_hi:[0,1,1] neg_lo:[1,0,0] neg_hi:[1,0,0]
	ds_write_b64 v103, v[8:9]
	ds_write_b64 v6, v[2:3] offset:12480
	ds_read_b64 v[2:3], v102 offset:4992
	ds_read_b64 v[4:5], v6 offset:11232
	v_mov_b32_e32 v8, v1
	v_mov_b32_e32 v9, v13
	s_waitcnt lgkmcnt(0)
	v_pk_add_f32 v[10:11], v[2:3], v[4:5]
	v_pk_add_f32 v[2:3], v[2:3], v[4:5] neg_lo:[0,1] neg_hi:[0,1]
	v_mov_b32_e32 v4, v11
	v_mov_b32_e32 v5, v2
	v_pk_mul_f32 v[4:5], v[4:5], 0.5 op_sel_hi:[1,0]
	s_nop 0
	v_mov_b32_e32 v2, v5
	v_mov_b32_e32 v11, v4
	v_pk_mul_f32 v[2:3], v[0:1], v[2:3]
	s_waitcnt vmcnt(0)
	v_mov_b32_e32 v0, v25
	v_pk_fma_f32 v[14:15], v[10:11], v[8:9], v[2:3]
	v_pk_fma_f32 v[2:3], v[10:11], v[8:9], v[2:3] neg_lo:[0,0,1] neg_hi:[0,0,1]
	v_pk_fma_f32 v[8:9], v[12:13], v[4:5], v[14:15]
	v_pk_fma_f32 v[10:11], v[12:13], v[4:5], v[14:15] op_sel_hi:[0,1,1] neg_lo:[1,0,0] neg_hi:[1,0,0]
	v_mov_b32_e32 v9, v11
	v_pk_fma_f32 v[2:3], v[12:13], v[4:5], v[2:3] op_sel_hi:[0,1,1] neg_lo:[1,0,0] neg_hi:[1,0,0]
	ds_write_b64 v102, v[8:9] offset:4992
	ds_write_b64 v6, v[2:3] offset:11232
	ds_read_b64 v[2:3], v102 offset:6240
	ds_read_b64 v[4:5], v6 offset:9984
	v_mov_b32_e32 v8, v1
	v_mov_b32_e32 v9, v25
	s_waitcnt lgkmcnt(0)
	v_pk_add_f32 v[10:11], v[2:3], v[4:5]
	v_pk_add_f32 v[2:3], v[2:3], v[4:5] neg_lo:[0,1] neg_hi:[0,1]
	v_mov_b32_e32 v4, v11
	v_mov_b32_e32 v5, v2
	v_pk_mul_f32 v[4:5], v[4:5], 0.5 op_sel_hi:[1,0]
	s_nop 0
	v_mov_b32_e32 v2, v5
	v_mov_b32_e32 v11, v4
	v_pk_mul_f32 v[2:3], v[0:1], v[2:3]
	s_nop 0
	v_pk_fma_f32 v[12:13], v[10:11], v[8:9], v[2:3]
	v_pk_fma_f32 v[2:3], v[10:11], v[8:9], v[2:3] neg_lo:[0,0,1] neg_hi:[0,0,1]
	v_pk_fma_f32 v[8:9], v[24:25], v[4:5], v[12:13]
	v_pk_fma_f32 v[10:11], v[24:25], v[4:5], v[12:13] op_sel_hi:[0,1,1] neg_lo:[1,0,0] neg_hi:[1,0,0]
	v_mov_b32_e32 v9, v11
	v_pk_fma_f32 v[2:3], v[24:25], v[4:5], v[2:3] op_sel_hi:[0,1,1] neg_lo:[1,0,0] neg_hi:[1,0,0]
	ds_write_b64 v102, v[8:9] offset:6240
	ds_write_b64 v6, v[2:3] offset:9984
	s_and_saveexec_b64 s[4:5], vcc
	s_cbranch_execz .LBB0_27
; %bb.26:
	v_add_u32_e32 v20, 0x3a8, v16
	v_lshl_add_u64 v[2:3], v[20:21], 3, s[2:3]
	global_load_dwordx2 v[2:3], v[2:3], off
	ds_read_b64 v[4:5], v102 offset:7488
	ds_read_b64 v[8:9], v6 offset:8736
	v_mov_b32_e32 v10, v1
	s_waitcnt lgkmcnt(0)
	v_pk_add_f32 v[12:13], v[4:5], v[8:9]
	v_pk_add_f32 v[4:5], v[4:5], v[8:9] neg_lo:[0,1] neg_hi:[0,1]
	v_mov_b32_e32 v8, v13
	v_mov_b32_e32 v9, v4
	v_pk_mul_f32 v[8:9], v[8:9], 0.5 op_sel_hi:[1,0]
	s_waitcnt vmcnt(0)
	v_mov_b32_e32 v0, v3
	v_mov_b32_e32 v4, v9
	;; [unrolled: 1-line block ×4, first 2 shown]
	v_pk_mul_f32 v[0:1], v[0:1], v[4:5]
	s_nop 0
	v_pk_fma_f32 v[4:5], v[12:13], v[10:11], v[0:1]
	v_pk_fma_f32 v[0:1], v[12:13], v[10:11], v[0:1] neg_lo:[0,0,1] neg_hi:[0,0,1]
	v_pk_fma_f32 v[10:11], v[2:3], v[8:9], v[4:5]
	v_pk_fma_f32 v[4:5], v[2:3], v[8:9], v[4:5] op_sel_hi:[0,1,1] neg_lo:[1,0,0] neg_hi:[1,0,0]
	v_mov_b32_e32 v11, v5
	v_pk_fma_f32 v[0:1], v[2:3], v[8:9], v[0:1] op_sel_hi:[0,1,1] neg_lo:[1,0,0] neg_hi:[1,0,0]
	ds_write_b64 v102, v[10:11] offset:7488
	ds_write_b64 v6, v[0:1] offset:8736
.LBB0_27:
	s_or_b64 exec, exec, s[4:5]
	s_waitcnt lgkmcnt(0)
	s_barrier
	s_and_saveexec_b64 s[2:3], s[0:1]
	s_cbranch_execz .LBB0_30
; %bb.28:
	ds_read2_b64 v[0:3], v102 offset1:156
	v_add_u32_e32 v4, 0x800, v102
	ds_read2_b64 v[4:7], v4 offset0:56 offset1:212
	v_mov_b32_e32 v17, 0
	v_lshl_add_u64 v[8:9], v[16:17], 3, v[18:19]
	s_waitcnt lgkmcnt(1)
	global_store_dwordx2 v[8:9], v[0:1], off
	global_store_dwordx2 v[8:9], v[2:3], off offset:1248
	s_waitcnt lgkmcnt(0)
	global_store_dwordx2 v[8:9], v[4:5], off offset:2496
	global_store_dwordx2 v[8:9], v[6:7], off offset:3744
	v_add_u32_e32 v0, 0x1200, v102
	ds_read2_b64 v[0:3], v0 offset0:48 offset1:204
	v_add_u32_e32 v4, 0x1c00, v102
	ds_read2_b64 v[4:7], v4 offset0:40 offset1:196
	v_add_co_u32_e32 v10, vcc, 0x1000, v8
	s_movk_i32 s0, 0x9b
	s_nop 0
	v_addc_co_u32_e32 v11, vcc, 0, v9, vcc
	s_waitcnt lgkmcnt(1)
	global_store_dwordx2 v[10:11], v[0:1], off offset:896
	global_store_dwordx2 v[10:11], v[2:3], off offset:2144
	s_waitcnt lgkmcnt(0)
	global_store_dwordx2 v[10:11], v[4:5], off offset:3392
	v_add_u32_e32 v0, 0x2400, v102
	ds_read2_b64 v[0:3], v0 offset0:96 offset1:252
	v_add_co_u32_e32 v4, vcc, 0x2000, v8
	s_nop 1
	v_addc_co_u32_e32 v5, vcc, 0, v9, vcc
	global_store_dwordx2 v[4:5], v[6:7], off offset:544
	s_waitcnt lgkmcnt(0)
	global_store_dwordx2 v[4:5], v[0:1], off offset:1792
	global_store_dwordx2 v[4:5], v[2:3], off offset:3040
	v_add_u32_e32 v0, 0x3000, v102
	ds_read2_b64 v[0:3], v0 offset0:24 offset1:180
	v_add_co_u32_e32 v4, vcc, 0x3000, v8
	ds_read_b64 v[6:7], v102 offset:14976
	s_nop 0
	v_addc_co_u32_e32 v5, vcc, 0, v9, vcc
	v_cmp_eq_u32_e32 vcc, s0, v16
	s_waitcnt lgkmcnt(1)
	global_store_dwordx2 v[4:5], v[0:1], off offset:192
	global_store_dwordx2 v[4:5], v[2:3], off offset:1440
	s_waitcnt lgkmcnt(0)
	global_store_dwordx2 v[4:5], v[6:7], off offset:2688
	s_and_b64 exec, exec, vcc
	s_cbranch_execz .LBB0_30
; %bb.29:
	ds_read_b64 v[0:1], v17 offset:16224
	v_add_co_u32_e32 v2, vcc, 0x3000, v18
	s_nop 1
	v_addc_co_u32_e32 v3, vcc, 0, v19, vcc
	s_waitcnt lgkmcnt(0)
	global_store_dwordx2 v[2:3], v[0:1], off offset:3936
.LBB0_30:
	s_endpgm
	.section	.rodata,"a",@progbits
	.p2align	6, 0x0
	.amdhsa_kernel fft_rtc_back_len2028_factors_13_4_3_13_wgs_156_tpt_156_sp_ip_CI_unitstride_sbrr_R2C_dirReg
		.amdhsa_group_segment_fixed_size 0
		.amdhsa_private_segment_fixed_size 0
		.amdhsa_kernarg_size 88
		.amdhsa_user_sgpr_count 2
		.amdhsa_user_sgpr_dispatch_ptr 0
		.amdhsa_user_sgpr_queue_ptr 0
		.amdhsa_user_sgpr_kernarg_segment_ptr 1
		.amdhsa_user_sgpr_dispatch_id 0
		.amdhsa_user_sgpr_kernarg_preload_length 0
		.amdhsa_user_sgpr_kernarg_preload_offset 0
		.amdhsa_user_sgpr_private_segment_size 0
		.amdhsa_uses_dynamic_stack 0
		.amdhsa_enable_private_segment 0
		.amdhsa_system_sgpr_workgroup_id_x 1
		.amdhsa_system_sgpr_workgroup_id_y 0
		.amdhsa_system_sgpr_workgroup_id_z 0
		.amdhsa_system_sgpr_workgroup_info 0
		.amdhsa_system_vgpr_workitem_id 0
		.amdhsa_next_free_vgpr 166
		.amdhsa_next_free_sgpr 36
		.amdhsa_accum_offset 168
		.amdhsa_reserve_vcc 1
		.amdhsa_float_round_mode_32 0
		.amdhsa_float_round_mode_16_64 0
		.amdhsa_float_denorm_mode_32 3
		.amdhsa_float_denorm_mode_16_64 3
		.amdhsa_dx10_clamp 1
		.amdhsa_ieee_mode 1
		.amdhsa_fp16_overflow 0
		.amdhsa_tg_split 0
		.amdhsa_exception_fp_ieee_invalid_op 0
		.amdhsa_exception_fp_denorm_src 0
		.amdhsa_exception_fp_ieee_div_zero 0
		.amdhsa_exception_fp_ieee_overflow 0
		.amdhsa_exception_fp_ieee_underflow 0
		.amdhsa_exception_fp_ieee_inexact 0
		.amdhsa_exception_int_div_zero 0
	.end_amdhsa_kernel
	.text
.Lfunc_end0:
	.size	fft_rtc_back_len2028_factors_13_4_3_13_wgs_156_tpt_156_sp_ip_CI_unitstride_sbrr_R2C_dirReg, .Lfunc_end0-fft_rtc_back_len2028_factors_13_4_3_13_wgs_156_tpt_156_sp_ip_CI_unitstride_sbrr_R2C_dirReg
                                        ; -- End function
	.section	.AMDGPU.csdata,"",@progbits
; Kernel info:
; codeLenInByte = 11048
; NumSgprs: 42
; NumVgprs: 166
; NumAgprs: 0
; TotalNumVgprs: 166
; ScratchSize: 0
; MemoryBound: 0
; FloatMode: 240
; IeeeMode: 1
; LDSByteSize: 0 bytes/workgroup (compile time only)
; SGPRBlocks: 5
; VGPRBlocks: 20
; NumSGPRsForWavesPerEU: 42
; NumVGPRsForWavesPerEU: 166
; AccumOffset: 168
; Occupancy: 3
; WaveLimiterHint : 1
; COMPUTE_PGM_RSRC2:SCRATCH_EN: 0
; COMPUTE_PGM_RSRC2:USER_SGPR: 2
; COMPUTE_PGM_RSRC2:TRAP_HANDLER: 0
; COMPUTE_PGM_RSRC2:TGID_X_EN: 1
; COMPUTE_PGM_RSRC2:TGID_Y_EN: 0
; COMPUTE_PGM_RSRC2:TGID_Z_EN: 0
; COMPUTE_PGM_RSRC2:TIDIG_COMP_CNT: 0
; COMPUTE_PGM_RSRC3_GFX90A:ACCUM_OFFSET: 41
; COMPUTE_PGM_RSRC3_GFX90A:TG_SPLIT: 0
	.text
	.p2alignl 6, 3212836864
	.fill 256, 4, 3212836864
	.type	__hip_cuid_fc5bc1c197b7c0c3,@object ; @__hip_cuid_fc5bc1c197b7c0c3
	.section	.bss,"aw",@nobits
	.globl	__hip_cuid_fc5bc1c197b7c0c3
__hip_cuid_fc5bc1c197b7c0c3:
	.byte	0                               ; 0x0
	.size	__hip_cuid_fc5bc1c197b7c0c3, 1

	.ident	"AMD clang version 19.0.0git (https://github.com/RadeonOpenCompute/llvm-project roc-6.4.0 25133 c7fe45cf4b819c5991fe208aaa96edf142730f1d)"
	.section	".note.GNU-stack","",@progbits
	.addrsig
	.addrsig_sym __hip_cuid_fc5bc1c197b7c0c3
	.amdgpu_metadata
---
amdhsa.kernels:
  - .agpr_count:     0
    .args:
      - .actual_access:  read_only
        .address_space:  global
        .offset:         0
        .size:           8
        .value_kind:     global_buffer
      - .offset:         8
        .size:           8
        .value_kind:     by_value
      - .actual_access:  read_only
        .address_space:  global
        .offset:         16
        .size:           8
        .value_kind:     global_buffer
      - .actual_access:  read_only
        .address_space:  global
        .offset:         24
        .size:           8
        .value_kind:     global_buffer
      - .offset:         32
        .size:           8
        .value_kind:     by_value
      - .actual_access:  read_only
        .address_space:  global
        .offset:         40
        .size:           8
        .value_kind:     global_buffer
      - .actual_access:  read_only
        .address_space:  global
        .offset:         48
        .size:           8
        .value_kind:     global_buffer
      - .offset:         56
        .size:           4
        .value_kind:     by_value
      - .actual_access:  read_only
        .address_space:  global
        .offset:         64
        .size:           8
        .value_kind:     global_buffer
      - .actual_access:  read_only
        .address_space:  global
        .offset:         72
        .size:           8
        .value_kind:     global_buffer
      - .address_space:  global
        .offset:         80
        .size:           8
        .value_kind:     global_buffer
    .group_segment_fixed_size: 0
    .kernarg_segment_align: 8
    .kernarg_segment_size: 88
    .language:       OpenCL C
    .language_version:
      - 2
      - 0
    .max_flat_workgroup_size: 156
    .name:           fft_rtc_back_len2028_factors_13_4_3_13_wgs_156_tpt_156_sp_ip_CI_unitstride_sbrr_R2C_dirReg
    .private_segment_fixed_size: 0
    .sgpr_count:     42
    .sgpr_spill_count: 0
    .symbol:         fft_rtc_back_len2028_factors_13_4_3_13_wgs_156_tpt_156_sp_ip_CI_unitstride_sbrr_R2C_dirReg.kd
    .uniform_work_group_size: 1
    .uses_dynamic_stack: false
    .vgpr_count:     166
    .vgpr_spill_count: 0
    .wavefront_size: 64
amdhsa.target:   amdgcn-amd-amdhsa--gfx950
amdhsa.version:
  - 1
  - 2
...

	.end_amdgpu_metadata
